;; amdgpu-corpus repo=ROCm/rocFFT kind=compiled arch=gfx90a opt=O3
	.text
	.amdgcn_target "amdgcn-amd-amdhsa--gfx90a"
	.amdhsa_code_object_version 6
	.protected	fft_rtc_fwd_len595_factors_7_17_5_wgs_51_tpt_17_halfLds_dp_ip_CI_sbrr_dirReg ; -- Begin function fft_rtc_fwd_len595_factors_7_17_5_wgs_51_tpt_17_halfLds_dp_ip_CI_sbrr_dirReg
	.globl	fft_rtc_fwd_len595_factors_7_17_5_wgs_51_tpt_17_halfLds_dp_ip_CI_sbrr_dirReg
	.p2align	8
	.type	fft_rtc_fwd_len595_factors_7_17_5_wgs_51_tpt_17_halfLds_dp_ip_CI_sbrr_dirReg,@function
fft_rtc_fwd_len595_factors_7_17_5_wgs_51_tpt_17_halfLds_dp_ip_CI_sbrr_dirReg: ; @fft_rtc_fwd_len595_factors_7_17_5_wgs_51_tpt_17_halfLds_dp_ip_CI_sbrr_dirReg
; %bb.0:
	s_load_dwordx2 s[14:15], s[4:5], 0x18
	s_load_dwordx4 s[8:11], s[4:5], 0x0
	s_load_dwordx2 s[12:13], s[4:5], 0x50
	v_mul_u32_u24_e32 v1, 0xf10, v0
	v_lshrrev_b32_e32 v2, 16, v1
	s_waitcnt lgkmcnt(0)
	s_load_dwordx2 s[2:3], s[14:15], 0x0
	v_mad_u64_u32 v[4:5], s[0:1], s6, 3, v[2:3]
	v_mov_b32_e32 v6, 0
	v_mov_b32_e32 v5, v6
	v_cmp_lt_u64_e64 s[0:1], s[10:11], 2
	s_and_b64 vcc, exec, s[0:1]
	v_pk_mov_b32 v[2:3], 0, 0
	v_pk_mov_b32 v[10:11], v[4:5], v[4:5] op_sel:[0,1]
	s_cbranch_vccnz .LBB0_8
; %bb.1:
	s_load_dwordx2 s[0:1], s[4:5], 0x10
	s_add_u32 s6, s14, 8
	s_addc_u32 s7, s15, 0
	s_mov_b64 s[16:17], 1
	v_pk_mov_b32 v[2:3], 0, 0
	s_waitcnt lgkmcnt(0)
	s_add_u32 s18, s0, 8
	s_addc_u32 s19, s1, 0
	v_pk_mov_b32 v[8:9], v[4:5], v[4:5] op_sel:[0,1]
.LBB0_2:                                ; =>This Inner Loop Header: Depth=1
	s_load_dwordx2 s[20:21], s[18:19], 0x0
                                        ; implicit-def: $vgpr10_vgpr11
	s_waitcnt lgkmcnt(0)
	v_or_b32_e32 v7, s21, v9
	v_cmp_ne_u64_e32 vcc, 0, v[6:7]
	s_and_saveexec_b64 s[0:1], vcc
	s_xor_b64 s[22:23], exec, s[0:1]
	s_cbranch_execz .LBB0_4
; %bb.3:                                ;   in Loop: Header=BB0_2 Depth=1
	v_cvt_f32_u32_e32 v1, s20
	v_cvt_f32_u32_e32 v5, s21
	s_sub_u32 s0, 0, s20
	s_subb_u32 s1, 0, s21
	v_mac_f32_e32 v1, 0x4f800000, v5
	v_rcp_f32_e32 v1, v1
	v_mul_f32_e32 v1, 0x5f7ffffc, v1
	v_mul_f32_e32 v5, 0x2f800000, v1
	v_trunc_f32_e32 v5, v5
	v_mac_f32_e32 v1, 0xcf800000, v5
	v_cvt_u32_f32_e32 v5, v5
	v_cvt_u32_f32_e32 v1, v1
	v_mul_lo_u32 v7, s0, v5
	v_mul_hi_u32 v11, s0, v1
	v_mul_lo_u32 v10, s1, v1
	v_add_u32_e32 v7, v11, v7
	v_mul_lo_u32 v12, s0, v1
	v_add_u32_e32 v7, v7, v10
	v_mul_hi_u32 v11, v1, v12
	v_mul_lo_u32 v13, v1, v7
	v_mul_hi_u32 v10, v1, v7
	v_add_co_u32_e32 v11, vcc, v11, v13
	v_addc_co_u32_e32 v10, vcc, 0, v10, vcc
	v_mul_hi_u32 v14, v5, v12
	v_mul_lo_u32 v12, v5, v12
	v_add_co_u32_e32 v11, vcc, v11, v12
	v_mul_hi_u32 v13, v5, v7
	v_addc_co_u32_e32 v10, vcc, v10, v14, vcc
	v_addc_co_u32_e32 v11, vcc, 0, v13, vcc
	v_mul_lo_u32 v7, v5, v7
	v_add_co_u32_e32 v7, vcc, v10, v7
	v_addc_co_u32_e32 v10, vcc, 0, v11, vcc
	v_add_co_u32_e32 v1, vcc, v1, v7
	v_addc_co_u32_e32 v5, vcc, v5, v10, vcc
	v_mul_lo_u32 v7, s0, v5
	v_mul_hi_u32 v10, s0, v1
	v_add_u32_e32 v7, v10, v7
	v_mul_lo_u32 v10, s1, v1
	v_add_u32_e32 v7, v7, v10
	v_mul_lo_u32 v11, s0, v1
	v_mul_hi_u32 v12, v5, v11
	v_mul_lo_u32 v13, v5, v11
	v_mul_lo_u32 v15, v1, v7
	v_mul_hi_u32 v11, v1, v11
	v_mul_hi_u32 v14, v1, v7
	v_add_co_u32_e32 v11, vcc, v11, v15
	v_addc_co_u32_e32 v14, vcc, 0, v14, vcc
	v_add_co_u32_e32 v11, vcc, v11, v13
	v_mul_hi_u32 v10, v5, v7
	v_addc_co_u32_e32 v11, vcc, v14, v12, vcc
	v_addc_co_u32_e32 v10, vcc, 0, v10, vcc
	v_mul_lo_u32 v7, v5, v7
	v_add_co_u32_e32 v7, vcc, v11, v7
	v_addc_co_u32_e32 v10, vcc, 0, v10, vcc
	v_add_co_u32_e32 v1, vcc, v1, v7
	v_addc_co_u32_e32 v5, vcc, v5, v10, vcc
	v_mad_u64_u32 v[10:11], s[0:1], v8, v5, 0
	v_mul_hi_u32 v7, v8, v1
	v_add_co_u32_e32 v7, vcc, v7, v10
	v_addc_co_u32_e32 v14, vcc, 0, v11, vcc
	v_mad_u64_u32 v[12:13], s[0:1], v9, v1, 0
	v_add_co_u32_e32 v1, vcc, v7, v12
	v_mad_u64_u32 v[10:11], s[0:1], v9, v5, 0
	v_addc_co_u32_e32 v1, vcc, v14, v13, vcc
	v_addc_co_u32_e32 v5, vcc, 0, v11, vcc
	v_add_co_u32_e32 v1, vcc, v1, v10
	v_addc_co_u32_e32 v5, vcc, 0, v5, vcc
	v_mul_lo_u32 v7, s21, v1
	v_mul_lo_u32 v12, s20, v5
	v_mad_u64_u32 v[10:11], s[0:1], s20, v1, 0
	v_add3_u32 v7, v11, v12, v7
	v_sub_u32_e32 v11, v9, v7
	v_mov_b32_e32 v12, s21
	v_sub_co_u32_e32 v10, vcc, v8, v10
	v_subb_co_u32_e64 v11, s[0:1], v11, v12, vcc
	v_subrev_co_u32_e64 v12, s[0:1], s20, v10
	v_subbrev_co_u32_e64 v11, s[0:1], 0, v11, s[0:1]
	v_cmp_le_u32_e64 s[0:1], s21, v11
	v_cndmask_b32_e64 v13, 0, -1, s[0:1]
	v_cmp_le_u32_e64 s[0:1], s20, v12
	v_cndmask_b32_e64 v12, 0, -1, s[0:1]
	v_cmp_eq_u32_e64 s[0:1], s21, v11
	v_cndmask_b32_e64 v11, v13, v12, s[0:1]
	v_add_co_u32_e64 v12, s[0:1], 2, v1
	v_addc_co_u32_e64 v13, s[0:1], 0, v5, s[0:1]
	v_add_co_u32_e64 v14, s[0:1], 1, v1
	v_addc_co_u32_e64 v15, s[0:1], 0, v5, s[0:1]
	v_subb_co_u32_e32 v7, vcc, v9, v7, vcc
	v_cmp_ne_u32_e64 s[0:1], 0, v11
	v_cmp_le_u32_e32 vcc, s21, v7
	v_cndmask_b32_e64 v11, v15, v13, s[0:1]
	v_cndmask_b32_e64 v13, 0, -1, vcc
	v_cmp_le_u32_e32 vcc, s20, v10
	v_cndmask_b32_e64 v10, 0, -1, vcc
	v_cmp_eq_u32_e32 vcc, s21, v7
	v_cndmask_b32_e32 v7, v13, v10, vcc
	v_cmp_ne_u32_e32 vcc, 0, v7
	v_cndmask_b32_e32 v11, v5, v11, vcc
	v_cndmask_b32_e64 v5, v14, v12, s[0:1]
	v_cndmask_b32_e32 v10, v1, v5, vcc
.LBB0_4:                                ;   in Loop: Header=BB0_2 Depth=1
	s_andn2_saveexec_b64 s[0:1], s[22:23]
	s_cbranch_execz .LBB0_6
; %bb.5:                                ;   in Loop: Header=BB0_2 Depth=1
	v_cvt_f32_u32_e32 v1, s20
	s_sub_i32 s22, 0, s20
	v_mov_b32_e32 v11, v6
	v_rcp_iflag_f32_e32 v1, v1
	v_mul_f32_e32 v1, 0x4f7ffffe, v1
	v_cvt_u32_f32_e32 v1, v1
	v_mul_lo_u32 v5, s22, v1
	v_mul_hi_u32 v5, v1, v5
	v_add_u32_e32 v1, v1, v5
	v_mul_hi_u32 v1, v8, v1
	v_mul_lo_u32 v5, v1, s20
	v_sub_u32_e32 v5, v8, v5
	v_add_u32_e32 v7, 1, v1
	v_subrev_u32_e32 v10, s20, v5
	v_cmp_le_u32_e32 vcc, s20, v5
	v_cndmask_b32_e32 v5, v5, v10, vcc
	v_cndmask_b32_e32 v1, v1, v7, vcc
	v_add_u32_e32 v7, 1, v1
	v_cmp_le_u32_e32 vcc, s20, v5
	v_cndmask_b32_e32 v10, v1, v7, vcc
.LBB0_6:                                ;   in Loop: Header=BB0_2 Depth=1
	s_or_b64 exec, exec, s[0:1]
	v_mad_u64_u32 v[12:13], s[0:1], v10, s20, 0
	s_load_dwordx2 s[0:1], s[6:7], 0x0
	s_add_u32 s16, s16, 1
	v_mul_lo_u32 v1, v11, s20
	v_mul_lo_u32 v5, v10, s21
	s_addc_u32 s17, s17, 0
	v_add3_u32 v1, v13, v5, v1
	v_sub_co_u32_e32 v5, vcc, v8, v12
	s_add_u32 s6, s6, 8
	v_subb_co_u32_e32 v1, vcc, v9, v1, vcc
	s_addc_u32 s7, s7, 0
	v_pk_mov_b32 v[8:9], s[10:11], s[10:11] op_sel:[0,1]
	s_waitcnt lgkmcnt(0)
	v_mul_lo_u32 v1, s0, v1
	v_mul_lo_u32 v7, s1, v5
	v_mad_u64_u32 v[2:3], s[0:1], s0, v5, v[2:3]
	s_add_u32 s18, s18, 8
	v_cmp_ge_u64_e32 vcc, s[16:17], v[8:9]
	v_add3_u32 v3, v7, v3, v1
	s_addc_u32 s19, s19, 0
	s_cbranch_vccnz .LBB0_8
; %bb.7:                                ;   in Loop: Header=BB0_2 Depth=1
	v_pk_mov_b32 v[8:9], v[10:11], v[10:11] op_sel:[0,1]
	s_branch .LBB0_2
.LBB0_8:
	s_lshl_b64 s[0:1], s[10:11], 3
	s_add_u32 s0, s14, s0
	s_addc_u32 s1, s15, s1
	s_load_dwordx2 s[6:7], s[0:1], 0x0
	s_load_dwordx2 s[10:11], s[4:5], 0x20
	s_mov_b32 s4, 0xf0f0f10
                                        ; implicit-def: $vgpr252
                                        ; implicit-def: $vgpr249
                                        ; implicit-def: $vgpr254
                                        ; implicit-def: $vgpr108
	s_waitcnt lgkmcnt(0)
	v_mul_lo_u32 v1, s6, v11
	v_mul_lo_u32 v5, s7, v10
	v_mad_u64_u32 v[2:3], s[0:1], s6, v10, v[2:3]
	v_add3_u32 v3, v5, v3, v1
	v_mul_hi_u32 v1, v0, s4
	v_mul_u32_u24_e32 v1, 17, v1
	v_sub_u32_e32 v248, v0, v1
	v_add_u32_e32 v0, 17, v248
	v_accvgpr_write_b32 a2, v0
	v_add_u32_e32 v0, 34, v248
	v_accvgpr_write_b32 a1, v0
	v_add_u32_e32 v0, 51, v248
	v_cmp_gt_u64_e32 vcc, s[10:11], v[10:11]
	v_cmp_le_u64_e64 s[0:1], s[10:11], v[10:11]
	v_accvgpr_write_b32 a0, v0
	s_and_saveexec_b64 s[4:5], s[0:1]
	s_xor_b64 s[0:1], exec, s[4:5]
; %bb.9:
	v_add_u32_e32 v252, 17, v248
	v_add_u32_e32 v249, 34, v248
	;; [unrolled: 1-line block ×4, first 2 shown]
; %bb.10:
	s_or_saveexec_b64 s[4:5], s[0:1]
	v_lshlrev_b64 v[0:1], 4, v[2:3]
	v_accvgpr_write_b32 a5, v1
	v_accvgpr_write_b32 a4, v0
                                        ; implicit-def: $vgpr106_vgpr107
                                        ; implicit-def: $vgpr98_vgpr99
                                        ; implicit-def: $vgpr90_vgpr91
                                        ; implicit-def: $vgpr82_vgpr83
                                        ; implicit-def: $vgpr94_vgpr95
                                        ; implicit-def: $vgpr102_vgpr103
                                        ; implicit-def: $vgpr72_vgpr73
                                        ; implicit-def: $vgpr140_vgpr141
                                        ; implicit-def: $vgpr132_vgpr133
                                        ; implicit-def: $vgpr124_vgpr125
                                        ; implicit-def: $vgpr120_vgpr121
                                        ; implicit-def: $vgpr128_vgpr129
                                        ; implicit-def: $vgpr136_vgpr137
                                        ; implicit-def: $vgpr112_vgpr113
                                        ; implicit-def: $vgpr170_vgpr171
                                        ; implicit-def: $vgpr162_vgpr163
                                        ; implicit-def: $vgpr154_vgpr155
                                        ; implicit-def: $vgpr150_vgpr151
                                        ; implicit-def: $vgpr158_vgpr159
                                        ; implicit-def: $vgpr166_vgpr167
                                        ; implicit-def: $vgpr146_vgpr147
                                        ; implicit-def: $vgpr202_vgpr203
                                        ; implicit-def: $vgpr194_vgpr195
                                        ; implicit-def: $vgpr186_vgpr187
                                        ; implicit-def: $vgpr182_vgpr183
                                        ; implicit-def: $vgpr190_vgpr191
                                        ; implicit-def: $vgpr198_vgpr199
                                        ; implicit-def: $vgpr174_vgpr175
                                        ; implicit-def: $vgpr222_vgpr223
                                        ; implicit-def: $vgpr214_vgpr215
                                        ; implicit-def: $vgpr210_vgpr211
                                        ; implicit-def: $vgpr42_vgpr43
                                        ; implicit-def: $vgpr38_vgpr39
                                        ; implicit-def: $vgpr30_vgpr31
                                        ; implicit-def: $vgpr2_vgpr3
	s_xor_b64 exec, exec, s[4:5]
	s_cbranch_execz .LBB0_12
; %bb.11:
	v_mad_u64_u32 v[0:1], s[0:1], s2, v248, 0
	v_mov_b32_e32 v2, v1
	v_accvgpr_read_b32 v7, a5
	v_mad_u64_u32 v[2:3], s[0:1], s3, v248, v[2:3]
	v_accvgpr_read_b32 v6, a4
	v_mov_b32_e32 v1, v2
	v_mov_b32_e32 v2, s13
	v_add_co_u32_e64 v5, s[0:1], s12, v6
	v_addc_co_u32_e64 v60, s[0:1], v2, v7, s[0:1]
	v_lshlrev_b64 v[0:1], 4, v[0:1]
	v_add_co_u32_e64 v6, s[0:1], v5, v0
	v_add_u32_e32 v3, 0x55, v248
	v_addc_co_u32_e64 v7, s[0:1], v60, v1, s[0:1]
	v_mad_u64_u32 v[0:1], s[0:1], s2, v3, 0
	v_mov_b32_e32 v2, v1
	v_mad_u64_u32 v[2:3], s[0:1], s3, v3, v[2:3]
	v_mov_b32_e32 v1, v2
	v_lshlrev_b64 v[0:1], 4, v[0:1]
	v_add_co_u32_e64 v8, s[0:1], v5, v0
	v_addc_co_u32_e64 v9, s[0:1], v60, v1, s[0:1]
	global_load_dwordx4 v[0:3], v[6:7], off
	global_load_dwordx4 v[28:31], v[8:9], off
	v_add_u32_e32 v9, 0xaa, v248
	v_mad_u64_u32 v[6:7], s[0:1], s2, v9, 0
	v_mov_b32_e32 v8, v7
	v_mad_u64_u32 v[8:9], s[0:1], s3, v9, v[8:9]
	v_mov_b32_e32 v7, v8
	v_lshlrev_b64 v[6:7], 4, v[6:7]
	v_add_co_u32_e64 v6, s[0:1], v5, v6
	v_add_u32_e32 v11, 0xff, v248
	v_addc_co_u32_e64 v7, s[0:1], v60, v7, s[0:1]
	v_mad_u64_u32 v[8:9], s[0:1], s2, v11, 0
	v_mov_b32_e32 v10, v9
	v_mad_u64_u32 v[10:11], s[0:1], s3, v11, v[10:11]
	v_mov_b32_e32 v9, v10
	v_lshlrev_b64 v[8:9], 4, v[8:9]
	v_add_co_u32_e64 v8, s[0:1], v5, v8
	v_addc_co_u32_e64 v9, s[0:1], v60, v9, s[0:1]
	global_load_dwordx4 v[36:39], v[6:7], off
	global_load_dwordx4 v[40:43], v[8:9], off
	v_add_u32_e32 v9, 0x154, v248
	v_mad_u64_u32 v[6:7], s[0:1], s2, v9, 0
	v_mov_b32_e32 v8, v7
	v_mad_u64_u32 v[8:9], s[0:1], s3, v9, v[8:9]
	v_mov_b32_e32 v7, v8
	v_lshlrev_b64 v[6:7], 4, v[6:7]
	v_add_co_u32_e64 v6, s[0:1], v5, v6
	v_add_u32_e32 v11, 0x1a9, v248
	v_addc_co_u32_e64 v7, s[0:1], v60, v7, s[0:1]
	v_mad_u64_u32 v[8:9], s[0:1], s2, v11, 0
	v_mov_b32_e32 v10, v9
	v_mad_u64_u32 v[10:11], s[0:1], s3, v11, v[10:11]
	v_mov_b32_e32 v9, v10
	v_lshlrev_b64 v[8:9], 4, v[8:9]
	v_add_co_u32_e64 v10, s[0:1], v5, v8
	v_add_u32_e32 v13, 0x1fe, v248
	v_addc_co_u32_e64 v11, s[0:1], v60, v9, s[0:1]
	v_mad_u64_u32 v[8:9], s[0:1], s2, v13, 0
	v_mov_b32_e32 v12, v9
	v_mad_u64_u32 v[12:13], s[0:1], s3, v13, v[12:13]
	v_mov_b32_e32 v9, v12
	v_lshlrev_b64 v[8:9], 4, v[8:9]
	v_add_co_u32_e64 v8, s[0:1], v5, v8
	v_accvgpr_read_b32 v252, a2
	v_addc_co_u32_e64 v9, s[0:1], v60, v9, s[0:1]
	v_mad_u64_u32 v[12:13], s[0:1], s2, v252, 0
	v_mov_b32_e32 v14, v13
	v_mad_u64_u32 v[14:15], s[0:1], s3, v252, v[14:15]
	v_mov_b32_e32 v13, v14
	v_lshlrev_b64 v[12:13], 4, v[12:13]
	v_add_co_u32_e64 v12, s[0:1], v5, v12
	v_add_u32_e32 v17, 0x66, v248
	v_addc_co_u32_e64 v13, s[0:1], v60, v13, s[0:1]
	v_mad_u64_u32 v[14:15], s[0:1], s2, v17, 0
	v_mov_b32_e32 v16, v15
	v_mad_u64_u32 v[16:17], s[0:1], s3, v17, v[16:17]
	v_mov_b32_e32 v15, v16
	v_lshlrev_b64 v[14:15], 4, v[14:15]
	v_add_co_u32_e64 v14, s[0:1], v5, v14
	v_add_u32_e32 v19, 0xbb, v248
	;; [unrolled: 8-line block ×6, first 2 shown]
	v_addc_co_u32_e64 v23, s[0:1], v60, v23, s[0:1]
	v_mad_u64_u32 v[24:25], s[0:1], s2, v27, 0
	v_mov_b32_e32 v26, v25
	v_mad_u64_u32 v[26:27], s[0:1], s3, v27, v[26:27]
	v_mov_b32_e32 v25, v26
	v_lshlrev_b64 v[24:25], 4, v[24:25]
	v_add_co_u32_e64 v24, s[0:1], v5, v24
	v_accvgpr_read_b32 v249, a1
	v_addc_co_u32_e64 v25, s[0:1], v60, v25, s[0:1]
	v_mad_u64_u32 v[26:27], s[0:1], s2, v249, 0
	v_mov_b32_e32 v32, v27
	v_mad_u64_u32 v[32:33], s[0:1], s3, v249, v[32:33]
	v_mov_b32_e32 v27, v32
	v_lshlrev_b64 v[26:27], 4, v[26:27]
	v_add_co_u32_e64 v26, s[0:1], v5, v26
	v_add_u32_e32 v35, 0x77, v248
	v_addc_co_u32_e64 v27, s[0:1], v60, v27, s[0:1]
	v_mad_u64_u32 v[32:33], s[0:1], s2, v35, 0
	v_mov_b32_e32 v34, v33
	v_mad_u64_u32 v[34:35], s[0:1], s3, v35, v[34:35]
	v_mov_b32_e32 v33, v34
	v_lshlrev_b64 v[32:33], 4, v[32:33]
	v_add_co_u32_e64 v32, s[0:1], v5, v32
	v_add_u32_e32 v45, 0xcc, v248
	;; [unrolled: 8-line block ×5, first 2 shown]
	v_addc_co_u32_e64 v47, s[0:1], v60, v47, s[0:1]
	v_mad_u64_u32 v[48:49], s[0:1], s2, v51, 0
	v_mov_b32_e32 v50, v49
	v_mad_u64_u32 v[50:51], s[0:1], s3, v51, v[50:51]
	v_mov_b32_e32 v49, v50
	v_lshlrev_b64 v[48:49], 4, v[48:49]
	v_add_co_u32_e64 v48, s[0:1], v5, v48
	v_or_b32_e32 v53, 0x220, v248
	v_addc_co_u32_e64 v49, s[0:1], v60, v49, s[0:1]
	v_mad_u64_u32 v[50:51], s[0:1], s2, v53, 0
	v_mov_b32_e32 v52, v51
	v_mad_u64_u32 v[52:53], s[0:1], s3, v53, v[52:53]
	v_mov_b32_e32 v51, v52
	v_lshlrev_b64 v[50:51], 4, v[50:51]
	v_add_co_u32_e64 v50, s[0:1], v5, v50
	v_accvgpr_read_b32 v254, a0
	v_addc_co_u32_e64 v51, s[0:1], v60, v51, s[0:1]
	v_mad_u64_u32 v[52:53], s[0:1], s2, v254, 0
	v_mov_b32_e32 v54, v53
	v_mad_u64_u32 v[54:55], s[0:1], s3, v254, v[54:55]
	v_mov_b32_e32 v53, v54
	v_lshlrev_b64 v[52:53], 4, v[52:53]
	v_add_co_u32_e64 v52, s[0:1], v5, v52
	v_add_u32_e32 v57, 0x88, v248
	v_addc_co_u32_e64 v53, s[0:1], v60, v53, s[0:1]
	v_mad_u64_u32 v[54:55], s[0:1], s2, v57, 0
	v_mov_b32_e32 v56, v55
	v_mad_u64_u32 v[56:57], s[0:1], s3, v57, v[56:57]
	v_mov_b32_e32 v55, v56
	v_lshlrev_b64 v[54:55], 4, v[54:55]
	v_add_co_u32_e64 v54, s[0:1], v5, v54
	v_add_u32_e32 v59, 0xdd, v248
	;; [unrolled: 8-line block ×13, first 2 shown]
	v_addc_co_u32_e64 v87, s[0:1], v60, v71, s[0:1]
	v_mad_u64_u32 v[70:71], s[0:1], s2, v61, 0
	v_mov_b32_e32 v72, v71
	v_mad_u64_u32 v[72:73], s[0:1], s3, v61, v[72:73]
	v_mov_b32_e32 v71, v72
	global_load_dwordx4 v[208:211], v[6:7], off
	global_load_dwordx4 v[212:215], v[10:11], off
	v_lshlrev_b64 v[6:7], 4, v[70:71]
	v_add_co_u32_e64 v6, s[0:1], v5, v6
	v_addc_co_u32_e64 v7, s[0:1], v60, v7, s[0:1]
	global_load_dwordx4 v[220:223], v[8:9], off
	global_load_dwordx4 v[172:175], v[12:13], off
	;; [unrolled: 1-line block ×9, first 2 shown]
                                        ; kill: killed $vgpr12 killed $vgpr13
                                        ; kill: killed $vgpr14 killed $vgpr15
                                        ; kill: killed $vgpr16 killed $vgpr17
                                        ; kill: killed $vgpr8 killed $vgpr9
                                        ; kill: killed $vgpr18 killed $vgpr19
                                        ; kill: killed $vgpr26 killed $vgpr27
                                        ; kill: killed $vgpr20 killed $vgpr21
                                        ; kill: killed $vgpr22 killed $vgpr23
                                        ; kill: killed $vgpr24 killed $vgpr25
	global_load_dwordx4 v[164:167], v[32:33], off
	global_load_dwordx4 v[156:159], v[34:35], off
	;; [unrolled: 1-line block ×5, first 2 shown]
                                        ; kill: killed $vgpr44 killed $vgpr45
                                        ; kill: killed $vgpr46 killed $vgpr47
                                        ; kill: killed $vgpr48 killed $vgpr49
                                        ; kill: killed $vgpr32 killed $vgpr33
                                        ; kill: killed $vgpr34 killed $vgpr35
	global_load_dwordx4 v[168:171], v[50:51], off
	global_load_dwordx4 v[110:113], v[52:53], off
                                        ; kill: killed $vgpr52 killed $vgpr53
                                        ; kill: killed $vgpr50 killed $vgpr51
	global_load_dwordx4 v[134:137], v[54:55], off
	global_load_dwordx4 v[126:129], v[56:57], off
	;; [unrolled: 1-line block ×13, first 2 shown]
.LBB0_12:
	s_or_b64 exec, exec, s[4:5]
	s_mov_b32 s0, 0xaaaaaaab
	v_mul_hi_u32 v5, v4, s0
	v_lshrrev_b32_e32 v5, 1, v5
	v_lshl_add_u32 v5, v5, 1, v5
	v_sub_u32_e32 v24, v4, v5
	s_waitcnt vmcnt(28)
	v_add_f64 v[4:5], v[220:221], v[28:29]
	v_add_f64 v[8:9], v[212:213], v[36:37]
	;; [unrolled: 1-line block ×4, first 2 shown]
	v_add_f64 v[10:11], v[38:39], -v[214:215]
	v_add_f64 v[14:15], v[210:211], -v[42:43]
	;; [unrolled: 1-line block ×5, first 2 shown]
	v_add_f64 v[12:13], v[12:13], v[16:17]
	v_add_f64 v[6:7], v[30:31], -v[222:223]
	v_add_f64 v[20:21], v[14:15], v[10:11]
	v_add_f64 v[0:1], v[0:1], v[12:13]
	s_mov_b32 s4, 0xaaaaaaaa
	s_mov_b32 s14, 0x37e14327
	;; [unrolled: 1-line block ×3, first 2 shown]
	v_add_f64 v[16:17], v[14:15], -v[10:11]
	v_add_f64 v[14:15], v[6:7], -v[14:15]
	;; [unrolled: 1-line block ×3, first 2 shown]
	v_add_f64 v[6:7], v[20:21], v[6:7]
	s_mov_b32 s5, 0xbff2aaaa
	v_pk_mov_b32 v[20:21], v[0:1], v[0:1] op_sel:[0,1]
	s_mov_b32 s15, 0x3fe948f6
	s_mov_b32 s7, 0x3fac98ee
	;; [unrolled: 1-line block ×5, first 2 shown]
	v_fmac_f64_e32 v[20:21], s[4:5], v[12:13]
	v_mul_f64 v[4:5], v[4:5], s[14:15]
	s_mov_b32 s11, 0x3fe77f67
	v_mul_f64 v[12:13], v[8:9], s[6:7]
	s_mov_b32 s17, 0xbfe77f67
	s_mov_b32 s16, s10
	;; [unrolled: 1-line block ×5, first 2 shown]
	v_fma_f64 v[12:13], v[18:19], s[10:11], -v[12:13]
	v_fma_f64 v[18:19], v[18:19], s[16:17], -v[4:5]
	v_fmac_f64_e32 v[4:5], s[6:7], v[8:9]
	v_mul_f64 v[16:17], v[16:17], s[22:23]
	s_mov_b32 s19, 0x3fd5d0dc
	v_mul_f64 v[8:9], v[10:11], s[20:21]
	s_mov_b32 s27, 0xbfd5d0dc
	s_mov_b32 s26, s18
	v_mul_u32_u24_e32 v24, 0x253, v24
	s_mov_b32 s24, 0x37c3f68c
	v_fma_f64 v[22:23], v[10:11], s[20:21], -v[16:17]
	v_fmac_f64_e32 v[16:17], s[18:19], v[14:15]
	v_fma_f64 v[8:9], v[14:15], s[26:27], -v[8:9]
	s_mov_b32 s25, 0x3fdc38aa
	v_lshlrev_b32_e32 v26, 3, v24
	v_add_f64 v[4:5], v[4:5], v[20:21]
	v_add_f64 v[12:13], v[12:13], v[20:21]
	;; [unrolled: 1-line block ×3, first 2 shown]
	v_fmac_f64_e32 v[16:17], s[24:25], v[6:7]
	v_fmac_f64_e32 v[22:23], s[24:25], v[6:7]
	;; [unrolled: 1-line block ×3, first 2 shown]
	v_add_u32_e32 v232, 0, v26
	v_add_f64 v[18:19], v[16:17], v[4:5]
	v_add_f64 v[10:11], v[12:13], -v[22:23]
	v_add_f64 v[6:7], v[22:23], v[12:13]
	v_add_f64 v[12:13], v[8:9], v[14:15]
	v_add_f64 v[8:9], v[14:15], -v[8:9]
	v_add_f64 v[4:5], v[4:5], -v[16:17]
	s_waitcnt vmcnt(21)
	v_add_f64 v[14:15], v[200:201], v[196:197]
	v_mad_u32_u24 v74, v248, 56, v232
	v_add_f64 v[16:17], v[192:193], v[188:189]
	ds_write2_b64 v74, v[12:13], v[10:11] offset0:2 offset1:3
	v_add_f64 v[12:13], v[184:185], v[180:181]
	ds_write2_b64 v74, v[6:7], v[8:9] offset0:4 offset1:5
	v_add_f64 v[6:7], v[16:17], v[14:15]
	v_add_f64 v[10:11], v[190:191], -v[194:195]
	v_add_f64 v[8:9], v[16:17], -v[14:15]
	;; [unrolled: 1-line block ×4, first 2 shown]
	v_add_f64 v[6:7], v[12:13], v[6:7]
	v_add_f64 v[12:13], v[186:187], -v[182:183]
	ds_write2_b64 v74, v[0:1], v[18:19] offset1:1
	v_add_f64 v[0:1], v[198:199], -v[202:203]
	v_add_f64 v[18:19], v[12:13], v[10:11]
	v_add_f64 v[20:21], v[12:13], -v[10:11]
	v_add_f64 v[12:13], v[0:1], -v[12:13]
	v_add_f64 v[10:11], v[10:11], -v[0:1]
	v_add_f64 v[0:1], v[18:19], v[0:1]
	v_add_f64 v[18:19], v[172:173], v[6:7]
	v_pk_mov_b32 v[22:23], v[18:19], v[18:19] op_sel:[0,1]
	v_fmac_f64_e32 v[22:23], s[4:5], v[6:7]
	v_mul_f64 v[6:7], v[14:15], s[14:15]
	v_mul_f64 v[14:15], v[16:17], s[6:7]
	v_fma_f64 v[14:15], v[8:9], s[10:11], -v[14:15]
	v_fma_f64 v[8:9], v[8:9], s[16:17], -v[6:7]
	v_fmac_f64_e32 v[6:7], s[6:7], v[16:17]
	v_mul_f64 v[16:17], v[20:21], s[22:23]
	v_mul_f64 v[20:21], v[10:11], s[20:21]
	v_fma_f64 v[10:11], v[10:11], s[20:21], -v[16:17]
	v_fmac_f64_e32 v[16:17], s[18:19], v[12:13]
	v_fma_f64 v[12:13], v[12:13], s[26:27], -v[20:21]
	v_add_f64 v[14:15], v[14:15], v[22:23]
	v_add_f64 v[8:9], v[8:9], v[22:23]
	v_fmac_f64_e32 v[10:11], s[24:25], v[0:1]
	v_fmac_f64_e32 v[12:13], s[24:25], v[0:1]
	;; [unrolled: 1-line block ×3, first 2 shown]
	v_add_f64 v[0:1], v[14:15], -v[10:11]
	v_add_f64 v[10:11], v[10:11], v[14:15]
	v_add_f64 v[14:15], v[12:13], v[8:9]
	v_mad_i32_i24 v75, v252, 56, v232
	v_add_f64 v[8:9], v[8:9], -v[12:13]
	ds_write_b64 v74, v[4:5] offset:48
	s_waitcnt vmcnt(14)
	v_add_f64 v[4:5], v[168:169], v[164:165]
	ds_write2_b64 v75, v[14:15], v[0:1] offset0:2 offset1:3
	v_add_f64 v[0:1], v[160:161], v[156:157]
	v_add_f64 v[6:7], v[6:7], v[22:23]
	;; [unrolled: 1-line block ×3, first 2 shown]
	ds_write2_b64 v75, v[10:11], v[8:9] offset0:4 offset1:5
	v_add_f64 v[8:9], v[0:1], v[4:5]
	v_add_f64 v[12:13], v[16:17], v[6:7]
	v_add_f64 v[6:7], v[6:7], -v[16:17]
	v_add_f64 v[10:11], v[0:1], -v[4:5]
	;; [unrolled: 1-line block ×4, first 2 shown]
	v_add_f64 v[8:9], v[14:15], v[8:9]
	v_add_f64 v[14:15], v[158:159], -v[162:163]
	v_add_f64 v[16:17], v[154:155], -v[150:151]
	ds_write2_b64 v75, v[18:19], v[12:13] offset1:1
	v_add_f64 v[12:13], v[166:167], -v[170:171]
	v_add_f64 v[18:19], v[16:17], v[14:15]
	v_add_f64 v[20:21], v[16:17], -v[14:15]
	v_add_f64 v[16:17], v[12:13], -v[16:17]
	;; [unrolled: 1-line block ×3, first 2 shown]
	v_add_f64 v[12:13], v[18:19], v[12:13]
	v_add_f64 v[18:19], v[144:145], v[8:9]
	v_pk_mov_b32 v[22:23], v[18:19], v[18:19] op_sel:[0,1]
	v_fmac_f64_e32 v[22:23], s[4:5], v[8:9]
	v_mul_f64 v[4:5], v[4:5], s[14:15]
	v_mul_f64 v[8:9], v[0:1], s[6:7]
	v_fma_f64 v[8:9], v[10:11], s[10:11], -v[8:9]
	v_fma_f64 v[10:11], v[10:11], s[16:17], -v[4:5]
	v_fmac_f64_e32 v[4:5], s[6:7], v[0:1]
	v_mul_f64 v[0:1], v[20:21], s[22:23]
	v_mul_f64 v[20:21], v[14:15], s[20:21]
	v_fma_f64 v[14:15], v[14:15], s[20:21], -v[0:1]
	v_fmac_f64_e32 v[0:1], s[18:19], v[16:17]
	v_fma_f64 v[16:17], v[16:17], s[26:27], -v[20:21]
	v_add_f64 v[8:9], v[8:9], v[22:23]
	v_add_f64 v[10:11], v[10:11], v[22:23]
	v_fmac_f64_e32 v[14:15], s[24:25], v[12:13]
	v_fmac_f64_e32 v[16:17], s[24:25], v[12:13]
	v_add_f64 v[4:5], v[4:5], v[22:23]
	v_fmac_f64_e32 v[0:1], s[24:25], v[12:13]
	v_add_f64 v[12:13], v[8:9], -v[14:15]
	v_add_f64 v[8:9], v[14:15], v[8:9]
	v_add_f64 v[14:15], v[16:17], v[10:11]
	v_mad_i32_i24 v172, v249, 56, v232
	v_add_f64 v[10:11], v[10:11], -v[16:17]
	v_add_f64 v[16:17], v[0:1], v[4:5]
	v_add_f64 v[0:1], v[4:5], -v[0:1]
	ds_write_b64 v75, v[6:7] offset:48
	s_waitcnt vmcnt(7)
	v_add_f64 v[4:5], v[138:139], v[134:135]
	ds_write2_b64 v172, v[14:15], v[12:13] offset0:2 offset1:3
	v_add_f64 v[12:13], v[130:131], v[126:127]
	v_add_f64 v[14:15], v[122:123], v[118:119]
	ds_write2_b64 v172, v[8:9], v[10:11] offset0:4 offset1:5
	v_add_f64 v[8:9], v[12:13], v[4:5]
	ds_write2_b64 v172, v[18:19], v[16:17] offset1:1
	v_add_f64 v[10:11], v[12:13], -v[4:5]
	v_add_f64 v[4:5], v[4:5], -v[14:15]
	v_add_f64 v[12:13], v[14:15], -v[12:13]
	v_add_f64 v[8:9], v[14:15], v[8:9]
	v_add_f64 v[14:15], v[128:129], -v[132:133]
	v_add_f64 v[16:17], v[124:125], -v[120:121]
	v_add_f64 v[6:7], v[136:137], -v[140:141]
	v_add_f64 v[18:19], v[16:17], v[14:15]
	v_add_f64 v[20:21], v[16:17], -v[14:15]
	v_add_f64 v[16:17], v[6:7], -v[16:17]
	v_add_f64 v[14:15], v[14:15], -v[6:7]
	v_add_f64 v[6:7], v[18:19], v[6:7]
	v_add_f64 v[18:19], v[110:111], v[8:9]
	v_pk_mov_b32 v[22:23], v[18:19], v[18:19] op_sel:[0,1]
	ds_write_b64 v172, v[0:1] offset:48
	v_mul_f64 v[0:1], v[4:5], s[14:15]
	v_fmac_f64_e32 v[22:23], s[4:5], v[8:9]
	v_fma_f64 v[8:9], v[10:11], s[16:17], -v[0:1]
	v_fmac_f64_e32 v[0:1], s[6:7], v[12:13]
	v_mul_f64 v[12:13], v[12:13], s[6:7]
	v_mul_f64 v[4:5], v[20:21], s[22:23]
	v_fma_f64 v[10:11], v[10:11], s[10:11], -v[12:13]
	v_mul_f64 v[12:13], v[14:15], s[20:21]
	v_fma_f64 v[20:21], v[14:15], s[20:21], -v[4:5]
	v_fma_f64 v[12:13], v[16:17], s[26:27], -v[12:13]
	v_fmac_f64_e32 v[4:5], s[18:19], v[16:17]
	v_add_f64 v[10:11], v[10:11], v[22:23]
	v_add_f64 v[8:9], v[8:9], v[22:23]
	v_fmac_f64_e32 v[20:21], s[24:25], v[6:7]
	v_fmac_f64_e32 v[12:13], s[24:25], v[6:7]
	v_add_f64 v[0:1], v[0:1], v[22:23]
	v_fmac_f64_e32 v[4:5], s[24:25], v[6:7]
	v_mad_i32_i24 v173, v254, 56, v232
	v_add_f64 v[6:7], v[10:11], -v[20:21]
	v_add_f64 v[14:15], v[12:13], v[8:9]
	v_add_f64 v[24:25], v[4:5], v[0:1]
	;; [unrolled: 1-line block ×3, first 2 shown]
	v_add_f64 v[8:9], v[8:9], -v[12:13]
	v_add_f64 v[0:1], v[0:1], -v[4:5]
	s_waitcnt vmcnt(0)
	v_add_f64 v[4:5], v[104:105], v[100:101]
	ds_write2_b64 v173, v[14:15], v[6:7] offset0:2 offset1:3
	v_add_f64 v[6:7], v[96:97], v[92:93]
	v_add_f64 v[12:13], v[88:89], v[80:81]
	ds_write2_b64 v173, v[10:11], v[8:9] offset0:4 offset1:5
	v_add_f64 v[8:9], v[6:7], v[4:5]
	v_add_f64 v[14:15], v[94:95], -v[98:99]
	v_add_f64 v[16:17], v[90:91], -v[82:83]
	ds_write2_b64 v173, v[18:19], v[24:25] offset1:1
	v_add_f64 v[10:11], v[6:7], -v[4:5]
	v_add_f64 v[4:5], v[4:5], -v[12:13]
	;; [unrolled: 1-line block ×3, first 2 shown]
	v_add_f64 v[8:9], v[12:13], v[8:9]
	v_add_f64 v[12:13], v[102:103], -v[106:107]
	v_add_f64 v[18:19], v[16:17], v[14:15]
	v_add_f64 v[20:21], v[16:17], -v[14:15]
	v_add_f64 v[16:17], v[12:13], -v[16:17]
	v_add_f64 v[14:15], v[14:15], -v[12:13]
	v_add_f64 v[12:13], v[18:19], v[12:13]
	v_add_f64 v[18:19], v[70:71], v[8:9]
	v_pk_mov_b32 v[22:23], v[18:19], v[18:19] op_sel:[0,1]
	ds_write_b64 v173, v[0:1] offset:48
	v_mul_f64 v[0:1], v[4:5], s[14:15]
	v_fmac_f64_e32 v[22:23], s[4:5], v[8:9]
	v_mul_f64 v[4:5], v[20:21], s[22:23]
	v_fma_f64 v[8:9], v[10:11], s[16:17], -v[0:1]
	v_fmac_f64_e32 v[0:1], s[6:7], v[6:7]
	v_mul_f64 v[6:7], v[6:7], s[6:7]
	v_fma_f64 v[20:21], v[14:15], s[20:21], -v[4:5]
	v_fmac_f64_e32 v[4:5], s[18:19], v[16:17]
	v_fma_f64 v[6:7], v[10:11], s[10:11], -v[6:7]
	v_mul_f64 v[10:11], v[14:15], s[20:21]
	v_add_f64 v[0:1], v[0:1], v[22:23]
	v_fmac_f64_e32 v[4:5], s[24:25], v[12:13]
	v_fma_f64 v[10:11], v[16:17], s[26:27], -v[10:11]
	v_add_f64 v[24:25], v[4:5], v[0:1]
	v_add_f64 v[6:7], v[6:7], v[22:23]
	;; [unrolled: 1-line block ×3, first 2 shown]
	v_fmac_f64_e32 v[20:21], s[24:25], v[12:13]
	v_fmac_f64_e32 v[10:11], s[24:25], v[12:13]
	v_add_f64 v[4:5], v[0:1], -v[4:5]
	v_lshlrev_b32_e32 v0, 3, v248
	v_mad_i32_i24 v238, v108, 56, v232
	v_add_f64 v[12:13], v[6:7], -v[20:21]
	v_add_f64 v[14:15], v[10:11], v[8:9]
	v_add_u32_e32 v1, v232, v0
	v_add3_u32 v233, 0, v0, v26
	v_lshl_add_u32 v0, v252, 3, v232
	v_accvgpr_write_b32 a47, v108
	ds_write2_b64 v238, v[18:19], v[24:25] offset1:1
	v_add_f64 v[6:7], v[20:21], v[6:7]
	v_add_f64 v[8:9], v[8:9], -v[10:11]
	ds_write2_b64 v238, v[14:15], v[12:13] offset0:2 offset1:3
	ds_write2_b64 v238, v[6:7], v[8:9] offset0:4 offset1:5
	ds_write_b64 v238, v[4:5] offset:48
	s_waitcnt lgkmcnt(0)
	; wave barrier
	s_waitcnt lgkmcnt(0)
	v_add_u32_e32 v240, 0x400, v233
	v_add_u32_e32 v239, 0x800, v233
	;; [unrolled: 1-line block ×3, first 2 shown]
	ds_read_b64 v[236:237], v1
	ds_read_b64 v[234:235], v0
	ds_read2_b64 v[228:231], v233 offset0:35 offset1:52
	ds_read2_b64 v[224:227], v233 offset0:70 offset1:87
	;; [unrolled: 1-line block ×16, first 2 shown]
	v_accvgpr_write_b32 a46, v254
	v_accvgpr_write_b32 a8, v26
	;; [unrolled: 1-line block ×4, first 2 shown]
	v_cmp_eq_u32_e64 s[0:1], 0, v248
                                        ; implicit-def: $vgpr244_vgpr245
                                        ; implicit-def: $vgpr10_vgpr11
                                        ; implicit-def: $vgpr14_vgpr15
                                        ; implicit-def: $vgpr18_vgpr19
                                        ; implicit-def: $vgpr22_vgpr23
                                        ; implicit-def: $vgpr26_vgpr27
                                        ; implicit-def: $vgpr34_vgpr35
                                        ; implicit-def: $vgpr50_vgpr51
	s_and_saveexec_b64 s[28:29], s[0:1]
	s_cbranch_execz .LBB0_14
; %bb.13:
	v_add_u32_e32 v0, 0x400, v232
	ds_read2_b64 v[4:7], v232 offset0:34 offset1:69
	ds_read2_b64 v[48:51], v232 offset0:104 offset1:139
	ds_read2_b64 v[32:35], v232 offset0:174 offset1:209
	ds_read2_b64 v[24:27], v0 offset0:116 offset1:151
	v_add_u32_e32 v0, 0x800, v232
	ds_read2_b64 v[20:23], v0 offset0:58 offset1:93
	ds_read2_b64 v[16:19], v0 offset0:128 offset1:163
	;; [unrolled: 1-line block ×3, first 2 shown]
	v_add_u32_e32 v0, 0x1000, v232
	ds_read2_b64 v[8:11], v0 offset0:12 offset1:47
	ds_read_b64 v[244:245], v232 offset:4752
.LBB0_14:
	s_or_b64 exec, exec, s[28:29]
	v_add_f64 v[0:1], v[222:223], v[30:31]
	v_add_f64 v[30:31], v[214:215], v[38:39]
	;; [unrolled: 1-line block ×4, first 2 shown]
	v_add_f64 v[36:37], v[36:37], -v[212:213]
	v_add_f64 v[40:41], v[208:209], -v[40:41]
	;; [unrolled: 1-line block ×5, first 2 shown]
	v_add_f64 v[38:39], v[38:39], v[42:43]
	v_add_f64 v[28:29], v[28:29], -v[220:221]
	v_add_f64 v[210:211], v[40:41], v[36:37]
	v_add_f64 v[212:213], v[40:41], -v[36:37]
	;; [unrolled: 2-line block ×3, first 2 shown]
	v_add_f64 v[36:37], v[36:37], -v[28:29]
	v_add_f64 v[28:29], v[210:211], v[28:29]
	v_mul_f64 v[0:1], v[0:1], s[14:15]
	v_mul_f64 v[42:43], v[30:31], s[6:7]
	;; [unrolled: 1-line block ×3, first 2 shown]
	v_pk_mov_b32 v[214:215], v[2:3], v[2:3] op_sel:[0,1]
	v_fmac_f64_e32 v[214:215], s[4:5], v[38:39]
	v_fma_f64 v[38:39], v[208:209], s[10:11], -v[42:43]
	v_fma_f64 v[42:43], v[208:209], s[16:17], -v[0:1]
	v_fmac_f64_e32 v[0:1], s[6:7], v[30:31]
	v_fma_f64 v[30:31], v[36:37], s[20:21], -v[210:211]
	v_fmac_f64_e32 v[210:211], s[18:19], v[40:41]
	v_mul_f64 v[212:213], v[36:37], s[20:21]
	v_add_f64 v[0:1], v[0:1], v[214:215]
	v_add_f64 v[38:39], v[38:39], v[214:215]
	v_fmac_f64_e32 v[210:211], s[24:25], v[28:29]
	v_fmac_f64_e32 v[30:31], s[24:25], v[28:29]
	v_fma_f64 v[36:37], v[40:41], s[26:27], -v[212:213]
	v_add_f64 v[40:41], v[42:43], v[214:215]
	v_add_f64 v[42:43], v[0:1], -v[210:211]
	v_add_f64 v[208:209], v[30:31], v[38:39]
	v_add_f64 v[30:31], v[38:39], -v[30:31]
	v_add_f64 v[38:39], v[210:211], v[0:1]
	v_add_f64 v[0:1], v[202:203], v[198:199]
	;; [unrolled: 1-line block ×3, first 2 shown]
	v_fmac_f64_e32 v[36:37], s[24:25], v[28:29]
	v_add_f64 v[182:183], v[186:187], v[182:183]
	v_add_f64 v[180:181], v[184:185], -v[180:181]
	v_add_f64 v[184:185], v[190:191], v[0:1]
	v_add_f64 v[28:29], v[40:41], -v[36:37]
	;; [unrolled: 2-line block ×3, first 2 shown]
	v_add_f64 v[188:189], v[188:189], -v[192:193]
	v_add_f64 v[186:187], v[190:191], -v[0:1]
	v_add_f64 v[0:1], v[0:1], -v[182:183]
	v_add_f64 v[190:191], v[182:183], -v[190:191]
	v_add_f64 v[182:183], v[182:183], v[184:185]
	v_add_f64 v[192:193], v[180:181], v[188:189]
	v_add_f64 v[194:195], v[180:181], -v[188:189]
	v_add_f64 v[188:189], v[188:189], -v[40:41]
	v_add_f64 v[174:175], v[174:175], v[182:183]
	v_add_f64 v[180:181], v[40:41], -v[180:181]
	v_add_f64 v[40:41], v[192:193], v[40:41]
	v_mul_f64 v[0:1], v[0:1], s[14:15]
	v_mul_f64 v[184:185], v[190:191], s[6:7]
	v_mul_f64 v[192:193], v[194:195], s[22:23]
	v_mul_f64 v[194:195], v[188:189], s[20:21]
	v_pk_mov_b32 v[196:197], v[174:175], v[174:175] op_sel:[0,1]
	v_fmac_f64_e32 v[196:197], s[4:5], v[182:183]
	v_fma_f64 v[182:183], v[186:187], s[10:11], -v[184:185]
	v_fma_f64 v[184:185], v[186:187], s[16:17], -v[0:1]
	v_fmac_f64_e32 v[0:1], s[6:7], v[190:191]
	v_fma_f64 v[186:187], v[188:189], s[20:21], -v[192:193]
	v_fmac_f64_e32 v[192:193], s[18:19], v[180:181]
	v_fma_f64 v[180:181], v[180:181], s[26:27], -v[194:195]
	v_add_f64 v[0:1], v[0:1], v[196:197]
	v_add_f64 v[184:185], v[184:185], v[196:197]
	v_fmac_f64_e32 v[192:193], s[24:25], v[40:41]
	v_fmac_f64_e32 v[180:181], s[24:25], v[40:41]
	v_fmac_f64_e32 v[186:187], s[24:25], v[40:41]
	v_add_f64 v[40:41], v[0:1], -v[192:193]
	v_add_f64 v[188:189], v[184:185], -v[180:181]
	v_add_f64 v[180:181], v[180:181], v[184:185]
	v_add_f64 v[184:185], v[192:193], v[0:1]
	v_add_f64 v[0:1], v[170:171], v[166:167]
	v_add_f64 v[158:159], v[162:163], v[158:159]
	v_add_f64 v[150:151], v[154:155], v[150:151]
	v_add_f64 v[148:149], v[152:153], -v[148:149]
	v_add_f64 v[152:153], v[158:159], v[0:1]
	v_add_f64 v[164:165], v[164:165], -v[168:169]
	v_add_f64 v[156:157], v[156:157], -v[160:161]
	v_add_f64 v[154:155], v[158:159], -v[0:1]
	v_add_f64 v[0:1], v[0:1], -v[150:151]
	v_add_f64 v[158:159], v[150:151], -v[158:159]
	v_add_f64 v[150:151], v[150:151], v[152:153]
	v_add_f64 v[160:161], v[148:149], v[156:157]
	v_add_f64 v[162:163], v[148:149], -v[156:157]
	v_add_f64 v[156:157], v[156:157], -v[164:165]
	v_add_f64 v[146:147], v[146:147], v[150:151]
	v_add_f64 v[148:149], v[164:165], -v[148:149]
	v_add_f64 v[152:153], v[160:161], v[164:165]
	v_mul_f64 v[0:1], v[0:1], s[14:15]
	v_mul_f64 v[160:161], v[158:159], s[6:7]
	v_mul_f64 v[162:163], v[162:163], s[22:23]
	v_mul_f64 v[164:165], v[156:157], s[20:21]
	v_pk_mov_b32 v[166:167], v[146:147], v[146:147] op_sel:[0,1]
	v_fmac_f64_e32 v[166:167], s[4:5], v[150:151]
	v_fma_f64 v[150:151], v[154:155], s[10:11], -v[160:161]
	v_fma_f64 v[154:155], v[154:155], s[16:17], -v[0:1]
	v_fmac_f64_e32 v[0:1], s[6:7], v[158:159]
	v_fma_f64 v[156:157], v[156:157], s[20:21], -v[162:163]
	v_fmac_f64_e32 v[162:163], s[18:19], v[148:149]
	v_fma_f64 v[148:149], v[148:149], s[26:27], -v[164:165]
	v_add_f64 v[0:1], v[0:1], v[166:167]
	v_add_f64 v[154:155], v[154:155], v[166:167]
	v_fmac_f64_e32 v[162:163], s[24:25], v[152:153]
	v_fmac_f64_e32 v[148:149], s[24:25], v[152:153]
	v_fmac_f64_e32 v[156:157], s[24:25], v[152:153]
	v_add_f64 v[152:153], v[0:1], -v[162:163]
	v_add_f64 v[158:159], v[154:155], -v[148:149]
	v_add_f64 v[148:149], v[148:149], v[154:155]
	v_add_f64 v[154:155], v[162:163], v[0:1]
	v_add_f64 v[0:1], v[140:141], v[136:137]
	v_add_f64 v[128:129], v[132:133], v[128:129]
	v_add_f64 v[120:121], v[124:125], v[120:121]
	v_add_f64 v[118:119], v[122:123], -v[118:119]
	v_add_f64 v[122:123], v[128:129], v[0:1]
	v_add_f64 v[134:135], v[134:135], -v[138:139]
	;; [unrolled: 38-line block ×3, first 2 shown]
	v_add_f64 v[92:93], v[92:93], -v[96:97]
	v_add_f64 v[90:91], v[94:95], -v[0:1]
	;; [unrolled: 1-line block ×4, first 2 shown]
	v_add_f64 v[82:83], v[82:83], v[88:89]
	v_add_f64 v[96:97], v[80:81], v[92:93]
	v_add_f64 v[98:99], v[80:81], -v[92:93]
	v_add_f64 v[92:93], v[92:93], -v[100:101]
	v_add_f64 v[72:73], v[72:73], v[82:83]
	v_add_f64 v[80:81], v[100:101], -v[80:81]
	v_add_f64 v[88:89], v[96:97], v[100:101]
	v_mul_f64 v[0:1], v[0:1], s[14:15]
	v_mul_f64 v[96:97], v[94:95], s[6:7]
	;; [unrolled: 1-line block ×4, first 2 shown]
	v_pk_mov_b32 v[102:103], v[72:73], v[72:73] op_sel:[0,1]
	v_fmac_f64_e32 v[102:103], s[4:5], v[82:83]
	v_fma_f64 v[82:83], v[90:91], s[10:11], -v[96:97]
	v_fma_f64 v[90:91], v[90:91], s[16:17], -v[0:1]
	;; [unrolled: 1-line block ×3, first 2 shown]
	v_fmac_f64_e32 v[98:99], s[18:19], v[80:81]
	v_fma_f64 v[80:81], v[80:81], s[26:27], -v[100:101]
	v_add_f64 v[150:151], v[150:151], v[166:167]
	v_add_f64 v[120:121], v[120:121], v[136:137]
	v_fmac_f64_e32 v[0:1], s[6:7], v[94:95]
	v_add_f64 v[90:91], v[90:91], v[102:103]
	v_fmac_f64_e32 v[80:81], s[24:25], v[88:89]
	v_add_f64 v[182:183], v[182:183], v[196:197]
	v_add_f64 v[160:161], v[156:157], v[150:151]
	v_add_f64 v[150:151], v[150:151], -v[156:157]
	v_add_f64 v[130:131], v[126:127], v[120:121]
	v_add_f64 v[120:121], v[120:121], -v[126:127]
	v_add_f64 v[0:1], v[0:1], v[102:103]
	v_add_f64 v[82:83], v[82:83], v[102:103]
	v_fmac_f64_e32 v[98:99], s[24:25], v[88:89]
	v_fmac_f64_e32 v[92:93], s[24:25], v[88:89]
	v_add_f64 v[94:95], v[90:91], -v[80:81]
	v_add_f64 v[190:191], v[186:187], v[182:183]
	v_add_f64 v[182:183], v[182:183], -v[186:187]
	v_add_f64 v[88:89], v[0:1], -v[98:99]
	v_add_f64 v[96:97], v[92:93], v[82:83]
	v_add_f64 v[82:83], v[82:83], -v[92:93]
	v_add_f64 v[80:81], v[80:81], v[90:91]
	v_add_f64 v[0:1], v[98:99], v[0:1]
	s_waitcnt lgkmcnt(0)
	; wave barrier
	s_waitcnt lgkmcnt(0)
	ds_write2_b64 v74, v[2:3], v[42:43] offset1:1
	ds_write2_b64 v74, v[28:29], v[208:209] offset0:2 offset1:3
	ds_write2_b64 v74, v[30:31], v[36:37] offset0:4 offset1:5
	ds_write_b64 v74, v[38:39] offset:48
	ds_write2_b64 v75, v[174:175], v[40:41] offset1:1
	ds_write2_b64 v75, v[188:189], v[190:191] offset0:2 offset1:3
	ds_write2_b64 v75, v[182:183], v[180:181] offset0:4 offset1:5
	ds_write_b64 v75, v[184:185] offset:48
	;; [unrolled: 4-line block ×5, first 2 shown]
	s_waitcnt lgkmcnt(0)
	; wave barrier
	s_waitcnt lgkmcnt(0)
	ds_read2_b64 v[170:173], v233 offset0:35 offset1:52
	ds_read2_b64 v[166:169], v233 offset0:70 offset1:87
	ds_read2_b64 v[162:165], v233 offset0:105 offset1:122
	ds_read2_b64 v[158:161], v233 offset0:140 offset1:157
	ds_read2_b64 v[154:157], v233 offset0:175 offset1:192
	ds_read2_b64 v[150:153], v233 offset0:210 offset1:227
	ds_read2_b64 v[146:149], v240 offset0:117 offset1:134
	ds_read2_b64 v[138:141], v239 offset0:24 offset1:41
	ds_read2_b64 v[134:137], v239 offset0:59 offset1:76
	ds_read2_b64 v[130:133], v239 offset0:94 offset1:111
	ds_read2_b64 v[126:129], v239 offset0:129 offset1:146
	ds_read2_b64 v[122:125], v239 offset0:164 offset1:181
	ds_read2_b64 v[118:121], v239 offset0:199 offset1:216
	ds_read2_b64 v[104:107], v239 offset0:234 offset1:251
	ds_read2_b64 v[100:103], v241 offset0:13 offset1:30
	ds_read2_b64 v[92:95], v241 offset0:48 offset1:65
	v_accvgpr_read_b32 v2, a3
	ds_read_b64 v[174:175], v2
	v_accvgpr_read_b32 v2, a6
	ds_read_b64 v[112:113], v2
                                        ; implicit-def: $vgpr246_vgpr247
                                        ; implicit-def: $vgpr30_vgpr31
                                        ; implicit-def: $vgpr38_vgpr39
                                        ; implicit-def: $vgpr42_vgpr43
                                        ; implicit-def: $vgpr74_vgpr75
                                        ; implicit-def: $vgpr82_vgpr83
                                        ; implicit-def: $vgpr90_vgpr91
                                        ; implicit-def: $vgpr98_vgpr99
	s_and_saveexec_b64 s[4:5], s[0:1]
	s_cbranch_execz .LBB0_16
; %bb.15:
	v_add_u32_e32 v28, 0x400, v232
	ds_read2_b64 v[0:3], v232 offset0:34 offset1:69
	ds_read2_b64 v[96:99], v232 offset0:104 offset1:139
	ds_read2_b64 v[88:91], v232 offset0:174 offset1:209
	ds_read2_b64 v[80:83], v28 offset0:116 offset1:151
	v_add_u32_e32 v28, 0x800, v232
	ds_read2_b64 v[72:75], v28 offset0:58 offset1:93
	ds_read2_b64 v[40:43], v28 offset0:128 offset1:163
	;; [unrolled: 1-line block ×3, first 2 shown]
	v_add_u32_e32 v28, 0x1000, v232
	ds_read2_b64 v[28:31], v28 offset0:12 offset1:47
	ds_read_b64 v[246:247], v232 offset:4752
.LBB0_16:
	s_or_b64 exec, exec, s[4:5]
	v_mov_b32_e32 v209, 37
	v_mul_lo_u16_sdwa v180, v248, v209 dst_sel:DWORD dst_unused:UNUSED_PAD src0_sel:BYTE_0 src1_sel:DWORD
	v_sub_u16_sdwa v181, v248, v180 dst_sel:DWORD dst_unused:UNUSED_PAD src0_sel:DWORD src1_sel:BYTE_1
	v_lshrrev_b16_e32 v181, 1, v181
	v_and_b32_e32 v181, 0x7f, v181
	v_add_u16_sdwa v180, v181, v180 dst_sel:DWORD dst_unused:UNUSED_PAD src0_sel:DWORD src1_sel:BYTE_1
	v_lshrrev_b16_e32 v232, 2, v180
	v_mul_lo_u16_e32 v180, 7, v232
	v_mul_lo_u16_sdwa v184, v252, v209 dst_sel:DWORD dst_unused:UNUSED_PAD src0_sel:BYTE_0 src1_sel:DWORD
	v_sub_u16_e32 v208, v248, v180
	v_mov_b32_e32 v210, 8
	v_sub_u16_sdwa v185, v252, v184 dst_sel:DWORD dst_unused:UNUSED_PAD src0_sel:DWORD src1_sel:BYTE_1
	v_lshlrev_b32_sdwa v211, v210, v208 dst_sel:DWORD dst_unused:UNUSED_PAD src0_sel:DWORD src1_sel:BYTE_0
	v_lshrrev_b16_e32 v185, 1, v185
	global_load_dwordx4 v[180:183], v211, s[8:9]
	v_and_b32_e32 v185, 0x7f, v185
	v_add_u16_sdwa v184, v185, v184 dst_sel:DWORD dst_unused:UNUSED_PAD src0_sel:DWORD src1_sel:BYTE_1
	v_lshrrev_b16_e32 v185, 2, v184
	v_mul_lo_u16_e32 v184, 7, v185
	v_sub_u16_e32 v184, v252, v184
	v_lshlrev_b32_sdwa v238, v210, v184 dst_sel:DWORD dst_unused:UNUSED_PAD src0_sel:DWORD src1_sel:BYTE_0
	v_accvgpr_write_b32 a26, v185
	v_accvgpr_write_b32 a27, v184
	global_load_dwordx4 v[190:193], v238, s[8:9]
	global_load_dwordx4 v[194:197], v211, s[8:9] offset:16
	global_load_dwordx4 v[212:215], v238, s[8:9] offset:16
	;; [unrolled: 1-line block ×5, first 2 shown]
	v_accvgpr_write_b32 a64, v252
	s_mov_b32 s16, 0x5d8e7cdc
	s_mov_b32 s17, 0xbfd71e95
	;; [unrolled: 1-line block ×48, first 2 shown]
	s_movk_i32 s33, 0x3b8
	s_waitcnt vmcnt(6)
	v_mul_f64 v[188:189], v[228:229], v[182:183]
	s_waitcnt lgkmcnt(14)
	v_mul_f64 v[198:199], v[170:171], v[182:183]
	v_fmac_f64_e32 v[188:189], v[170:171], v[180:181]
	v_fma_f64 v[198:199], v[228:229], v[180:181], -v[198:199]
	s_waitcnt vmcnt(5)
	v_mul_f64 v[170:171], v[172:173], v[192:193]
	v_mul_f64 v[180:181], v[230:231], v[192:193]
	v_fma_f64 v[170:171], v[230:231], v[190:191], -v[170:171]
	global_load_dwordx4 v[228:231], v238, s[8:9] offset:48
	v_accvgpr_write_b32 a16, v170
	s_waitcnt vmcnt(5)
	v_mul_f64 v[200:201], v[224:225], v[196:197]
	v_accvgpr_write_b32 a17, v171
	v_fmac_f64_e32 v[180:181], v[172:173], v[190:191]
	global_load_dwordx4 v[170:173], v211, s[8:9] offset:64
	v_mul_f64 v[182:183], v[166:167], v[196:197]
	v_fmac_f64_e32 v[200:201], v[166:167], v[194:195]
	s_waitcnt vmcnt(5)
	v_mul_f64 v[166:167], v[168:169], v[214:215]
	v_fma_f64 v[250:251], v[224:225], v[194:195], -v[182:183]
	v_mul_f64 v[182:183], v[226:227], v[214:215]
	v_fma_f64 v[166:167], v[226:227], v[212:213], -v[166:167]
	global_load_dwordx4 v[224:227], v238, s[8:9] offset:64
	v_fmac_f64_e32 v[182:183], v[168:169], v[212:213]
	global_load_dwordx4 v[212:215], v211, s[8:9] offset:80
	s_waitcnt vmcnt(6)
	v_mul_f64 v[196:197], v[216:217], v[222:223]
	v_mul_f64 v[168:169], v[162:163], v[222:223]
	v_fmac_f64_e32 v[196:197], v[162:163], v[220:221]
	s_waitcnt vmcnt(5)
	v_mul_f64 v[162:163], v[164:165], v[242:243]
	v_fma_f64 v[190:191], v[216:217], v[220:221], -v[168:169]
	v_mul_f64 v[168:169], v[218:219], v[242:243]
	v_fma_f64 v[162:163], v[218:219], v[240:241], -v[162:163]
	global_load_dwordx4 v[216:219], v238, s[8:9] offset:80
	global_load_dwordx4 v[220:223], v211, s[8:9] offset:96
	v_accvgpr_write_b32 a12, v162
	v_accvgpr_write_b32 a14, v166
	;; [unrolled: 1-line block ×3, first 2 shown]
	s_waitcnt vmcnt(6)
	v_mul_f64 v[162:163], v[158:159], v[186:187]
	v_accvgpr_write_b32 a15, v167
	v_mul_f64 v[192:193], v[204:205], v[186:187]
	v_fma_f64 v[166:167], v[204:205], v[184:185], -v[162:163]
	global_load_dwordx4 v[202:205], v238, s[8:9] offset:96
	v_fmac_f64_e32 v[168:169], v[164:165], v[240:241]
	v_fmac_f64_e32 v[192:193], v[158:159], v[184:185]
	global_load_dwordx4 v[240:243], v211, s[8:9] offset:160
	v_accvgpr_write_b32 a52, v166
	v_accvgpr_write_b32 a53, v167
	v_accvgpr_mov_b32 a19, a15
	v_accvgpr_mov_b32 a18, a14
	v_accvgpr_write_b32 a48, v198
	v_accvgpr_write_b32 a62, v250
	;; [unrolled: 1-line block ×6, first 2 shown]
	s_waitcnt vmcnt(7)
	v_mul_f64 v[158:159], v[160:161], v[230:231]
	v_mul_f64 v[164:165], v[206:207], v[230:231]
	v_fma_f64 v[194:195], v[206:207], v[228:229], -v[158:159]
	v_fmac_f64_e32 v[164:165], v[160:161], v[228:229]
	global_load_dwordx4 v[228:231], v211, s[8:9] offset:112
	s_waitcnt vmcnt(7) lgkmcnt(13)
	v_mul_f64 v[158:159], v[154:155], v[172:173]
	v_mul_f64 v[184:185], v[176:177], v[172:173]
	v_fma_f64 v[254:255], v[176:177], v[170:171], -v[158:159]
	v_fmac_f64_e32 v[184:185], v[154:155], v[170:171]
	global_load_dwordx4 v[170:173], v238, s[8:9] offset:112
	v_accvgpr_write_b32 a44, v254
	v_accvgpr_write_b32 a45, v255
	s_waitcnt vmcnt(7)
	v_mul_f64 v[154:155], v[156:157], v[226:227]
	v_mul_f64 v[158:159], v[178:179], v[226:227]
	v_fma_f64 v[186:187], v[178:179], v[224:225], -v[154:155]
	v_fmac_f64_e32 v[158:159], v[156:157], v[224:225]
	global_load_dwordx4 v[224:227], v211, s[8:9] offset:128
	s_waitcnt vmcnt(7) lgkmcnt(12)
	v_mul_f64 v[154:155], v[150:151], v[214:215]
	v_mul_f64 v[178:179], v[142:143], v[214:215]
	v_fma_f64 v[252:253], v[142:143], v[212:213], -v[154:155]
	v_fmac_f64_e32 v[178:179], v[150:151], v[212:213]
	global_load_dwordx4 v[212:215], v238, s[8:9] offset:128
	s_waitcnt vmcnt(7)
	v_mul_f64 v[142:143], v[152:153], v[218:219]
	v_mul_f64 v[150:151], v[144:145], v[218:219]
	v_fma_f64 v[176:177], v[144:145], v[216:217], -v[142:143]
	v_fmac_f64_e32 v[150:151], v[152:153], v[216:217]
	global_load_dwordx4 v[216:219], v211, s[8:9] offset:144
	s_waitcnt vmcnt(7) lgkmcnt(11)
	v_mul_f64 v[142:143], v[146:147], v[222:223]
	v_mul_f64 v[156:157], v[114:115], v[222:223]
	v_fma_f64 v[152:153], v[114:115], v[220:221], -v[142:143]
	v_fmac_f64_e32 v[156:157], v[146:147], v[220:221]
	global_load_dwordx4 v[220:223], v238, s[8:9] offset:144
	s_waitcnt vmcnt(7)
	v_mul_f64 v[114:115], v[148:149], v[204:205]
	v_fma_f64 v[114:115], v[116:117], v[202:203], -v[114:115]
	v_accvgpr_write_b32 a10, v114
	v_accvgpr_write_b32 a11, v115
	v_mul_f64 v[116:117], v[116:117], v[204:205]
	v_fmac_f64_e32 v[116:117], v[148:149], v[202:203]
	v_accvgpr_write_b32 a60, v252
	v_accvgpr_write_b32 a61, v253
	global_load_dwordx4 v[160:163], v238, s[8:9] offset:192
	s_waitcnt vmcnt(6) lgkmcnt(10)
	v_mul_f64 v[114:115], v[138:139], v[230:231]
	v_mul_f64 v[146:147], v[108:109], v[230:231]
	v_fma_f64 v[114:115], v[108:109], v[228:229], -v[114:115]
	v_fmac_f64_e32 v[146:147], v[138:139], v[228:229]
	global_load_dwordx4 v[228:231], v238, s[8:9] offset:160
	s_waitcnt vmcnt(6)
	v_mul_f64 v[108:109], v[140:141], v[172:173]
	v_fma_f64 v[154:155], v[110:111], v[170:171], -v[108:109]
	v_mul_f64 v[110:111], v[110:111], v[172:173]
	v_fmac_f64_e32 v[110:111], v[140:141], v[170:171]
	global_load_dwordx4 v[170:173], v211, s[8:9] offset:176
	s_waitcnt vmcnt(6) lgkmcnt(9)
	v_mul_f64 v[138:139], v[134:135], v[226:227]
	v_fma_f64 v[138:139], v[84:85], v[224:225], -v[138:139]
	v_mul_f64 v[140:141], v[84:85], v[226:227]
	v_fmac_f64_e32 v[140:141], v[134:135], v[224:225]
	global_load_dwordx4 v[224:227], v238, s[8:9] offset:176
	s_waitcnt vmcnt(6)
	v_mul_f64 v[84:85], v[136:137], v[214:215]
	v_fma_f64 v[84:85], v[86:87], v[212:213], -v[84:85]
	v_mul_f64 v[86:87], v[86:87], v[214:215]
	v_fmac_f64_e32 v[86:87], v[136:137], v[212:213]
	global_load_dwordx4 v[134:137], v211, s[8:9] offset:192
	s_waitcnt vmcnt(6) lgkmcnt(8)
	v_mul_f64 v[142:143], v[130:131], v[218:219]
	v_fma_f64 v[202:203], v[76:77], v[216:217], -v[142:143]
	v_mul_f64 v[204:205], v[76:77], v[218:219]
	v_fmac_f64_e32 v[204:205], v[130:131], v[216:217]
	s_waitcnt lgkmcnt(7)
	v_mul_f64 v[142:143], v[126:127], v[242:243]
	s_waitcnt vmcnt(5)
	v_mul_f64 v[76:77], v[132:133], v[222:223]
	v_fma_f64 v[76:77], v[78:79], v[220:221], -v[76:77]
	v_mul_f64 v[78:79], v[78:79], v[222:223]
	v_fmac_f64_e32 v[78:79], v[132:133], v[220:221]
	global_load_dwordx4 v[130:133], v211, s[8:9] offset:208
	v_fma_f64 v[212:213], v[68:69], v[240:241], -v[142:143]
	v_mul_f64 v[214:215], v[68:69], v[242:243]
	v_fmac_f64_e32 v[214:215], v[126:127], v[240:241]
	global_load_dwordx4 v[240:243], v238, s[8:9] offset:208
	s_waitcnt vmcnt(5)
	v_mul_f64 v[68:69], v[128:129], v[230:231]
	v_fma_f64 v[68:69], v[70:71], v[228:229], -v[68:69]
	v_mul_f64 v[70:71], v[70:71], v[230:231]
	v_fmac_f64_e32 v[70:71], v[128:129], v[228:229]
	global_load_dwordx4 v[126:129], v211, s[8:9] offset:224
	s_waitcnt vmcnt(5) lgkmcnt(6)
	v_mul_f64 v[142:143], v[122:123], v[172:173]
	v_fma_f64 v[218:219], v[64:65], v[170:171], -v[142:143]
	v_mul_f64 v[220:221], v[64:65], v[172:173]
	v_fmac_f64_e32 v[220:221], v[122:123], v[170:171]
	global_load_dwordx4 v[170:173], v238, s[8:9] offset:224
	s_waitcnt vmcnt(5)
	v_mul_f64 v[64:65], v[124:125], v[226:227]
	v_fma_f64 v[64:65], v[66:67], v[224:225], -v[64:65]
	v_mul_f64 v[66:67], v[66:67], v[226:227]
	v_fmac_f64_e32 v[66:67], v[124:125], v[224:225]
	global_load_dwordx4 v[122:125], v211, s[8:9] offset:240
	s_waitcnt vmcnt(5) lgkmcnt(5)
	v_mul_f64 v[142:143], v[118:119], v[136:137]
	v_fma_f64 v[222:223], v[60:61], v[134:135], -v[142:143]
	v_mul_f64 v[224:225], v[60:61], v[136:137]
	v_mul_lo_u16_sdwa v60, v249, v209 dst_sel:DWORD dst_unused:UNUSED_PAD src0_sel:BYTE_0 src1_sel:DWORD
	v_sub_u16_sdwa v61, v249, v60 dst_sel:DWORD dst_unused:UNUSED_PAD src0_sel:DWORD src1_sel:BYTE_1
	v_lshrrev_b16_e32 v61, 1, v61
	global_load_dwordx4 v[142:145], v238, s[8:9] offset:240
	v_and_b32_e32 v61, 0x7f, v61
	v_add_u16_sdwa v60, v61, v60 dst_sel:DWORD dst_unused:UNUSED_PAD src0_sel:DWORD src1_sel:BYTE_1
	v_lshrrev_b16_e32 v60, 2, v60
	v_mul_lo_u16_e32 v60, 7, v60
	v_sub_u16_e32 v60, v249, v60
	v_accvgpr_write_b32 a7, v60
	v_lshlrev_b32_sdwa v108, v210, v60 dst_sel:DWORD dst_unused:UNUSED_PAD src0_sel:DWORD src1_sel:BYTE_0
	v_mul_f64 v[60:61], v[120:121], v[162:163]
	v_mul_f64 v[136:137], v[62:63], v[162:163]
	v_fmac_f64_e32 v[224:225], v[118:119], v[134:135]
	v_fma_f64 v[134:135], v[62:63], v[160:161], -v[60:61]
	v_fmac_f64_e32 v[136:137], v[120:121], v[160:161]
	global_load_dwordx4 v[160:163], v108, s[8:9] offset:16
	s_waitcnt vmcnt(6) lgkmcnt(4)
	v_mul_f64 v[60:61], v[104:105], v[132:133]
	v_mul_f64 v[228:229], v[56:57], v[132:133]
	v_fma_f64 v[226:227], v[56:57], v[130:131], -v[60:61]
	v_fmac_f64_e32 v[228:229], v[104:105], v[130:131]
	global_load_dwordx4 v[130:133], v108, s[8:9] offset:32
	s_waitcnt vmcnt(6)
	v_mul_f64 v[56:57], v[106:107], v[242:243]
	v_fma_f64 v[56:57], v[58:59], v[240:241], -v[56:57]
	v_mul_f64 v[206:207], v[58:59], v[242:243]
	global_load_dwordx4 v[58:61], v108, s[8:9] offset:48
	v_fmac_f64_e32 v[206:207], v[106:107], v[240:241]
	v_mov_b32_e32 v209, 3
	s_waitcnt vmcnt(6) lgkmcnt(3)
	v_mul_f64 v[62:63], v[100:101], v[128:129]
	v_mul_f64 v[238:239], v[52:53], v[128:129]
	v_fma_f64 v[230:231], v[52:53], v[126:127], -v[62:63]
	v_fmac_f64_e32 v[238:239], v[100:101], v[126:127]
	global_load_dwordx4 v[126:129], v108, s[8:9] offset:64
	s_waitcnt vmcnt(6)
	v_mul_f64 v[52:53], v[102:103], v[172:173]
	v_fma_f64 v[52:53], v[54:55], v[170:171], -v[52:53]
	v_mul_f64 v[54:55], v[54:55], v[172:173]
	v_fmac_f64_e32 v[54:55], v[102:103], v[170:171]
	global_load_dwordx4 v[170:173], v108, s[8:9] offset:80
	s_waitcnt vmcnt(6) lgkmcnt(2)
	v_mul_f64 v[62:63], v[92:93], v[124:125]
	v_mul_f64 v[242:243], v[44:45], v[124:125]
	v_fma_f64 v[240:241], v[44:45], v[122:123], -v[62:63]
	v_fmac_f64_e32 v[242:243], v[92:93], v[122:123]
	global_load_dwordx4 v[120:123], v108, s[8:9] offset:96
	s_waitcnt vmcnt(6)
	v_mul_f64 v[44:45], v[94:95], v[144:145]
	v_fma_f64 v[44:45], v[46:47], v[142:143], -v[44:45]
	v_mul_f64 v[46:47], v[46:47], v[144:145]
	v_fmac_f64_e32 v[46:47], v[94:95], v[142:143]
	global_load_dwordx4 v[142:145], v108, s[8:9] offset:112
	s_waitcnt vmcnt(6)
	v_mul_f64 v[62:63], v[96:97], v[162:163]
	v_mul_f64 v[118:119], v[48:49], v[162:163]
	v_fma_f64 v[62:63], v[48:49], v[160:161], -v[62:63]
	v_fmac_f64_e32 v[118:119], v[96:97], v[160:161]
	global_load_dwordx4 v[160:163], v108, s[8:9] offset:128
	s_waitcnt vmcnt(6)
	v_mul_f64 v[48:49], v[98:99], v[132:133]
	v_fma_f64 v[48:49], v[50:51], v[130:131], -v[48:49]
	v_accvgpr_write_b32 a22, v48
	v_accvgpr_write_b32 a23, v49
	v_mul_f64 v[96:97], v[50:51], v[132:133]
	global_load_dwordx4 v[48:51], v108, s[8:9]
	v_fmac_f64_e32 v[96:97], v[98:99], v[130:131]
	global_load_dwordx4 v[130:133], v108, s[8:9] offset:144
	v_accvgpr_write_b32 a32, v62
	v_accvgpr_write_b32 a33, v63
	s_waitcnt vmcnt(7)
	v_mul_f64 v[62:63], v[88:89], v[60:61]
	v_mul_f64 v[104:105], v[32:33], v[60:61]
	v_fma_f64 v[62:63], v[32:33], v[58:59], -v[62:63]
	v_fmac_f64_e32 v[104:105], v[88:89], v[58:59]
	v_accvgpr_write_b32 a28, v62
	v_accvgpr_write_b32 a29, v63
	s_waitcnt vmcnt(6)
	v_mul_f64 v[100:101], v[34:35], v[128:129]
	v_mul_f64 v[32:33], v[90:91], v[128:129]
	v_fmac_f64_e32 v[100:101], v[90:91], v[126:127]
	global_load_dwordx4 v[88:91], v108, s[8:9] offset:160
	v_fma_f64 v[32:33], v[34:35], v[126:127], -v[32:33]
	global_load_dwordx4 v[126:129], v108, s[8:9] offset:176
	v_accvgpr_write_b32 a24, v32
	v_accvgpr_write_b32 a25, v33
	s_waitcnt vmcnt(7)
	v_mul_f64 v[32:33], v[80:81], v[172:173]
	v_fma_f64 v[32:33], v[24:25], v[170:171], -v[32:33]
	v_mul_f64 v[58:59], v[24:25], v[172:173]
	v_accvgpr_write_b32 a20, v32
	s_waitcnt vmcnt(6)
	v_mul_f64 v[24:25], v[82:83], v[122:123]
	v_fma_f64 v[172:173], v[26:27], v[120:121], -v[24:25]
	v_mul_f64 v[94:95], v[26:27], v[122:123]
	global_load_dwordx4 v[24:27], v108, s[8:9] offset:192
	v_accvgpr_write_b32 a21, v33
	v_fmac_f64_e32 v[58:59], v[80:81], v[170:171]
	v_fmac_f64_e32 v[94:95], v[82:83], v[120:121]
	s_waitcnt vmcnt(6)
	v_mul_f64 v[32:33], v[72:73], v[144:145]
	v_fma_f64 v[122:123], v[20:21], v[142:143], -v[32:33]
	v_mul_f64 v[32:33], v[20:21], v[144:145]
	v_fmac_f64_e32 v[32:33], v[72:73], v[142:143]
	global_load_dwordx4 v[142:145], v108, s[8:9] offset:208
	v_add_f64 v[80:81], v[200:201], -v[238:239]
	s_waitcnt vmcnt(6)
	v_mul_f64 v[20:21], v[74:75], v[162:163]
	v_mul_f64 v[62:63], v[22:23], v[162:163]
	v_fma_f64 v[170:171], v[22:23], v[160:161], -v[20:21]
	v_fmac_f64_e32 v[62:63], v[74:75], v[160:161]
	global_load_dwordx4 v[20:23], v108, s[8:9] offset:224
	global_load_dwordx4 v[160:163], v108, s[8:9] offset:240
	s_waitcnt vmcnt(7) lgkmcnt(0)
	v_mul_f64 v[210:211], v[6:7], v[50:51]
	v_mul_f64 v[34:35], v[2:3], v[50:51]
	v_fmac_f64_e32 v[210:211], v[2:3], v[48:49]
	s_waitcnt vmcnt(6)
	v_mul_f64 v[2:3], v[40:41], v[132:133]
	v_fma_f64 v[2:3], v[16:17], v[130:131], -v[2:3]
	v_accvgpr_write_b32 a35, v3
	v_accvgpr_write_b32 a34, v2
	v_fma_f64 v[34:35], v[6:7], v[48:49], -v[34:35]
	v_add_f64 v[6:7], v[188:189], -v[242:243]
	v_mul_f64 v[82:83], v[16:17], v[132:133]
	v_mul_f64 v[16:17], v[6:7], s[40:41]
	;; [unrolled: 1-line block ×3, first 2 shown]
	v_fmac_f64_e32 v[82:83], v[40:41], v[130:131]
	; wave barrier
	v_accvgpr_write_b32 a71, v35
	v_accvgpr_write_b32 a70, v34
	v_accvgpr_read_b32 v35, a13
	v_accvgpr_read_b32 v34, a12
	s_waitcnt vmcnt(5)
	v_mul_f64 v[2:3], v[42:43], v[90:91]
	v_fma_f64 v[2:3], v[18:19], v[88:89], -v[2:3]
	v_accvgpr_write_b32 a39, v3
	v_accvgpr_write_b32 a38, v2
	s_waitcnt vmcnt(4)
	v_mul_f64 v[2:3], v[36:37], v[128:129]
	v_fma_f64 v[2:3], v[12:13], v[126:127], -v[2:3]
	v_accvgpr_write_b32 a41, v3
	v_accvgpr_write_b32 a40, v2
	v_mul_f64 v[120:121], v[18:19], v[90:91]
	v_mul_f64 v[124:125], v[12:13], v[128:129]
	v_fmac_f64_e32 v[120:121], v[42:43], v[88:89]
	v_mul_f64 v[12:13], v[6:7], s[26:27]
	s_waitcnt vmcnt(3)
	v_mul_f64 v[2:3], v[38:39], v[26:27]
	v_fma_f64 v[2:3], v[14:15], v[24:25], -v[2:3]
	v_accvgpr_write_b32 a51, v3
	v_accvgpr_write_b32 a50, v2
	v_mul_f64 v[128:129], v[14:15], v[26:27]
	v_fmac_f64_e32 v[128:129], v[38:39], v[24:25]
	v_mul_f64 v[24:25], v[6:7], s[18:19]
	v_mul_f64 v[42:43], v[6:7], s[22:23]
	s_waitcnt vmcnt(2)
	v_mul_f64 v[2:3], v[28:29], v[144:145]
	v_fma_f64 v[2:3], v[8:9], v[142:143], -v[2:3]
	v_accvgpr_write_b32 a67, v3
	v_accvgpr_write_b32 a66, v2
	v_mul_f64 v[132:133], v[8:9], v[144:145]
	v_mul_f64 v[8:9], v[6:7], s[16:17]
	;; [unrolled: 1-line block ×3, first 2 shown]
	v_fmac_f64_e32 v[124:125], v[36:37], v[126:127]
	v_add_f64 v[144:145], v[146:147], -v[140:141]
	v_fmac_f64_e32 v[132:133], v[28:29], v[142:143]
	v_add_f64 v[142:143], v[114:115], v[138:139]
	v_accvgpr_read_b32 v29, a17
	s_waitcnt vmcnt(1)
	v_mul_f64 v[2:3], v[30:31], v[22:23]
	v_fma_f64 v[2:3], v[10:11], v[20:21], -v[2:3]
	v_accvgpr_write_b32 a69, v3
	v_accvgpr_write_b32 a68, v2
	s_waitcnt vmcnt(0)
	v_mul_f64 v[2:3], v[246:247], v[162:163]
	v_fma_f64 v[2:3], v[244:245], v[160:161], -v[2:3]
	v_accvgpr_write_b32 a75, v3
	v_mul_f64 v[148:149], v[10:11], v[22:23]
	v_accvgpr_write_b32 a74, v2
	v_add_f64 v[2:3], v[198:199], v[240:241]
	v_fmac_f64_e32 v[148:149], v[30:31], v[20:21]
	v_fma_f64 v[10:11], v[2:3], s[4:5], -v[8:9]
	v_mul_f64 v[20:21], v[6:7], s[28:29]
	v_mul_f64 v[6:7], v[6:7], s[36:37]
	v_fmac_f64_e32 v[8:9], s[4:5], v[2:3]
	v_fma_f64 v[14:15], v[2:3], s[6:7], -v[12:13]
	v_fmac_f64_e32 v[12:13], s[6:7], v[2:3]
	v_fma_f64 v[18:19], v[2:3], s[10:11], -v[16:17]
	;; [unrolled: 2-line block ×7, first 2 shown]
	v_fmac_f64_e32 v[6:7], s[38:39], v[2:3]
	v_add_f64 v[2:3], v[236:237], v[10:11]
	v_add_f64 v[10:11], v[250:251], v[230:231]
	v_fma_f64 v[90:91], v[10:11], s[6:7], -v[88:89]
	v_add_f64 v[8:9], v[236:237], v[8:9]
	v_fmac_f64_e32 v[88:89], s[6:7], v[10:11]
	v_add_f64 v[8:9], v[88:89], v[8:9]
	v_mul_f64 v[88:89], v[80:81], s[28:29]
	v_add_f64 v[2:3], v[90:91], v[2:3]
	v_fma_f64 v[90:91], v[10:11], s[14:15], -v[88:89]
	v_add_f64 v[12:13], v[236:237], v[12:13]
	v_fmac_f64_e32 v[88:89], s[14:15], v[10:11]
	v_add_f64 v[14:15], v[236:237], v[14:15]
	v_add_f64 v[12:13], v[88:89], v[12:13]
	v_mul_f64 v[88:89], v[80:81], s[22:23]
	v_add_f64 v[14:15], v[90:91], v[14:15]
	v_fma_f64 v[90:91], v[10:11], s[24:25], -v[88:89]
	v_add_f64 v[16:17], v[236:237], v[16:17]
	v_fmac_f64_e32 v[88:89], s[24:25], v[10:11]
	v_add_f64 v[18:19], v[236:237], v[18:19]
	;; [unrolled: 7-line block ×5, first 2 shown]
	v_add_f64 v[42:43], v[88:89], v[42:43]
	v_mul_f64 v[88:89], v[80:81], s[42:43]
	v_add_f64 v[48:49], v[90:91], v[48:49]
	v_fma_f64 v[90:91], v[10:11], s[10:11], -v[88:89]
	v_add_f64 v[50:51], v[236:237], v[50:51]
	v_fmac_f64_e32 v[88:89], s[10:11], v[10:11]
	v_mul_f64 v[80:81], v[80:81], s[44:45]
	v_add_f64 v[50:51], v[88:89], v[50:51]
	v_fma_f64 v[88:89], v[10:11], s[4:5], -v[80:81]
	v_fmac_f64_e32 v[80:81], s[4:5], v[10:11]
	v_add_f64 v[6:7], v[236:237], v[6:7]
	v_add_f64 v[72:73], v[236:237], v[72:73]
	;; [unrolled: 1-line block ×3, first 2 shown]
	v_add_f64 v[80:81], v[196:197], -v[228:229]
	v_add_f64 v[60:61], v[236:237], v[60:61]
	v_add_f64 v[72:73], v[88:89], v[72:73]
	;; [unrolled: 1-line block ×3, first 2 shown]
	v_mul_f64 v[88:89], v[80:81], s[40:41]
	v_add_f64 v[60:61], v[90:91], v[60:61]
	v_fma_f64 v[90:91], v[10:11], s[10:11], -v[88:89]
	v_fmac_f64_e32 v[88:89], s[10:11], v[10:11]
	v_add_f64 v[8:9], v[88:89], v[8:9]
	v_mul_f64 v[88:89], v[80:81], s[22:23]
	v_add_f64 v[2:3], v[90:91], v[2:3]
	v_fma_f64 v[90:91], v[10:11], s[24:25], -v[88:89]
	v_fmac_f64_e32 v[88:89], s[24:25], v[10:11]
	v_add_f64 v[12:13], v[88:89], v[12:13]
	v_mul_f64 v[88:89], v[80:81], s[56:57]
	v_add_f64 v[14:15], v[90:91], v[14:15]
	v_fma_f64 v[90:91], v[10:11], s[38:39], -v[88:89]
	v_fmac_f64_e32 v[88:89], s[38:39], v[10:11]
	v_add_f64 v[16:17], v[88:89], v[16:17]
	v_mul_f64 v[88:89], v[80:81], s[48:49]
	v_add_f64 v[18:19], v[90:91], v[18:19]
	v_fma_f64 v[90:91], v[10:11], s[20:21], -v[88:89]
	v_fmac_f64_e32 v[88:89], s[20:21], v[10:11]
	v_add_f64 v[20:21], v[88:89], v[20:21]
	v_mul_f64 v[88:89], v[80:81], s[46:47]
	v_add_f64 v[22:23], v[90:91], v[22:23]
	v_fma_f64 v[90:91], v[10:11], s[6:7], -v[88:89]
	v_fmac_f64_e32 v[88:89], s[6:7], v[10:11]
	v_add_f64 v[24:25], v[88:89], v[24:25]
	v_mul_f64 v[88:89], v[80:81], s[16:17]
	v_add_f64 v[26:27], v[90:91], v[26:27]
	v_fma_f64 v[90:91], v[10:11], s[4:5], -v[88:89]
	v_fmac_f64_e32 v[88:89], s[4:5], v[10:11]
	v_add_f64 v[42:43], v[88:89], v[42:43]
	v_mul_f64 v[88:89], v[80:81], s[28:29]
	v_add_f64 v[48:49], v[90:91], v[48:49]
	v_fma_f64 v[90:91], v[10:11], s[14:15], -v[88:89]
	v_fmac_f64_e32 v[88:89], s[14:15], v[10:11]
	v_mul_f64 v[80:81], v[80:81], s[30:31]
	v_add_f64 v[50:51], v[88:89], v[50:51]
	v_fma_f64 v[88:89], v[10:11], s[34:35], -v[80:81]
	v_fmac_f64_e32 v[80:81], s[34:35], v[10:11]
	v_add_f64 v[6:7], v[80:81], v[6:7]
	v_add_f64 v[80:81], v[192:193], -v[224:225]
	v_add_f64 v[72:73], v[88:89], v[72:73]
	v_add_f64 v[10:11], v[166:167], v[222:223]
	v_mul_f64 v[88:89], v[80:81], s[28:29]
	v_add_f64 v[60:61], v[90:91], v[60:61]
	v_fma_f64 v[90:91], v[10:11], s[14:15], -v[88:89]
	v_fmac_f64_e32 v[88:89], s[14:15], v[10:11]
	v_add_f64 v[8:9], v[88:89], v[8:9]
	v_mul_f64 v[88:89], v[80:81], s[36:37]
	v_add_f64 v[2:3], v[90:91], v[2:3]
	v_fma_f64 v[90:91], v[10:11], s[38:39], -v[88:89]
	v_fmac_f64_e32 v[88:89], s[38:39], v[10:11]
	v_add_f64 v[12:13], v[88:89], v[12:13]
	v_mul_f64 v[88:89], v[80:81], s[48:49]
	v_add_f64 v[14:15], v[90:91], v[14:15]
	v_fma_f64 v[90:91], v[10:11], s[20:21], -v[88:89]
	v_fmac_f64_e32 v[88:89], s[20:21], v[10:11]
	v_add_f64 v[16:17], v[88:89], v[16:17]
	v_mul_f64 v[88:89], v[80:81], s[44:45]
	v_add_f64 v[18:19], v[90:91], v[18:19]
	v_fma_f64 v[90:91], v[10:11], s[4:5], -v[88:89]
	v_fmac_f64_e32 v[88:89], s[4:5], v[10:11]
	v_add_f64 v[20:21], v[88:89], v[20:21]
	v_mul_f64 v[88:89], v[80:81], s[40:41]
	v_add_f64 v[22:23], v[90:91], v[22:23]
	v_fma_f64 v[90:91], v[10:11], s[10:11], -v[88:89]
	v_fmac_f64_e32 v[88:89], s[10:11], v[10:11]
	v_add_f64 v[24:25], v[88:89], v[24:25]
	v_mul_f64 v[88:89], v[80:81], s[30:31]
	v_add_f64 v[26:27], v[90:91], v[26:27]
	v_fma_f64 v[90:91], v[10:11], s[34:35], -v[88:89]
	v_fmac_f64_e32 v[88:89], s[34:35], v[10:11]
	v_add_f64 v[42:43], v[88:89], v[42:43]
	v_mul_f64 v[88:89], v[80:81], s[54:55]
	v_add_f64 v[48:49], v[90:91], v[48:49]
	v_fma_f64 v[90:91], v[10:11], s[24:25], -v[88:89]
	v_fmac_f64_e32 v[88:89], s[24:25], v[10:11]
	v_mul_f64 v[80:81], v[80:81], s[46:47]
	v_add_f64 v[50:51], v[88:89], v[50:51]
	v_fma_f64 v[88:89], v[10:11], s[6:7], -v[80:81]
	v_fmac_f64_e32 v[80:81], s[6:7], v[10:11]
	v_add_f64 v[6:7], v[80:81], v[6:7]
	v_add_f64 v[80:81], v[184:185], -v[220:221]
	v_add_f64 v[72:73], v[88:89], v[72:73]
	v_add_f64 v[10:11], v[254:255], v[218:219]
	;; [unrolled: 42-line block ×4, first 2 shown]
	v_mul_f64 v[88:89], v[80:81], s[30:31]
	v_add_f64 v[60:61], v[90:91], v[60:61]
	v_fma_f64 v[90:91], v[10:11], s[34:35], -v[88:89]
	v_fmac_f64_e32 v[88:89], s[34:35], v[10:11]
	v_add_f64 v[8:9], v[88:89], v[8:9]
	v_mul_f64 v[88:89], v[80:81], s[42:43]
	v_add_f64 v[2:3], v[90:91], v[2:3]
	v_fma_f64 v[90:91], v[10:11], s[10:11], -v[88:89]
	v_fmac_f64_e32 v[88:89], s[10:11], v[10:11]
	v_add_f64 v[12:13], v[88:89], v[12:13]
	;; [unrolled: 5-line block ×8, first 2 shown]
	v_mul_f64 v[6:7], v[144:145], s[36:37]
	v_fma_f64 v[10:11], v[142:143], s[38:39], -v[6:7]
	v_fmac_f64_e32 v[6:7], s[38:39], v[142:143]
	v_add_f64 v[72:73], v[18:19], v[72:73]
	v_add_f64 v[18:19], v[10:11], v[2:3]
	;; [unrolled: 1-line block ×3, first 2 shown]
	v_mul_f64 v[6:7], v[144:145], s[44:45]
	v_fma_f64 v[8:9], v[142:143], s[4:5], -v[6:7]
	v_add_f64 v[16:17], v[8:9], v[14:15]
	v_mul_f64 v[8:9], v[144:145], s[30:31]
	v_fma_f64 v[10:11], v[142:143], s[34:35], -v[8:9]
	v_fmac_f64_e32 v[6:7], s[4:5], v[142:143]
	v_add_f64 v[22:23], v[10:11], v[90:91]
	v_mul_f64 v[10:11], v[144:145], s[46:47]
	v_add_f64 v[6:7], v[6:7], v[12:13]
	v_fma_f64 v[12:13], v[142:143], s[6:7], -v[10:11]
	v_add_f64 v[20:21], v[12:13], v[92:93]
	v_mul_f64 v[12:13], v[144:145], s[22:23]
	v_fma_f64 v[14:15], v[142:143], s[24:25], -v[12:13]
	v_add_f64 v[42:43], v[14:15], v[26:27]
	v_fmac_f64_e32 v[12:13], s[24:25], v[142:143]
	v_mul_f64 v[14:15], v[144:145], s[42:43]
	v_add_f64 v[12:13], v[12:13], v[24:25]
	v_fma_f64 v[24:25], v[142:143], s[10:11], -v[14:15]
	v_mul_f64 v[26:27], v[144:145], s[18:19]
	v_add_f64 v[24:25], v[24:25], v[48:49]
	v_fma_f64 v[48:49], v[142:143], s[20:21], -v[26:27]
	v_fmac_f64_e32 v[26:27], s[20:21], v[142:143]
	v_add_f64 v[50:51], v[26:27], v[50:51]
	v_mul_f64 v[26:27], v[144:145], s[52:53]
	v_add_f64 v[48:49], v[48:49], v[60:61]
	v_fma_f64 v[60:61], v[142:143], s[14:15], -v[26:27]
	v_fmac_f64_e32 v[26:27], s[14:15], v[142:143]
	v_add_f64 v[80:81], v[26:27], v[80:81]
	v_mad_u32_u24 v26, v232, s33, 0
	v_lshlrev_b32_sdwa v27, v209, v208 dst_sel:DWORD dst_unused:UNUSED_PAD src0_sel:DWORD src1_sel:BYTE_0
	v_accvgpr_read_b32 v232, a8
	v_add_f64 v[72:73], v[60:61], v[72:73]
	v_add3_u32 v61, v26, v27, v232
	v_add_f64 v[26:27], v[236:237], v[198:199]
	v_add_f64 v[26:27], v[26:27], v[250:251]
	;; [unrolled: 1-line block ×14, first 2 shown]
	v_fmac_f64_e32 v[8:9], s[34:35], v[142:143]
	v_add_f64 v[26:27], v[26:27], v[230:231]
	v_add_f64 v[8:9], v[8:9], v[88:89]
	v_fmac_f64_e32 v[10:11], s[6:7], v[142:143]
	v_fmac_f64_e32 v[14:15], s[10:11], v[142:143]
	v_add_f64 v[26:27], v[26:27], v[240:241]
	v_accvgpr_read_b32 v28, a16
	v_add_f64 v[88:89], v[180:181], -v[46:47]
	v_add_f64 v[10:11], v[10:11], v[126:127]
	v_add_f64 v[14:15], v[14:15], v[130:131]
	ds_write2_b64 v61, v[26:27], v[18:19] offset1:7
	v_add_f64 v[18:19], v[28:29], v[44:45]
	ds_write2_b64 v61, v[16:17], v[22:23] offset0:14 offset1:21
	v_mul_f64 v[16:17], v[88:89], s[16:17]
	v_fma_f64 v[90:91], v[18:19], s[4:5], -v[16:17]
	ds_write2_b64 v61, v[20:21], v[42:43] offset0:28 offset1:35
	v_mul_f64 v[20:21], v[88:89], s[26:27]
	ds_write2_b64 v61, v[24:25], v[48:49] offset0:42 offset1:49
	v_mul_f64 v[22:23], v[88:89], s[40:41]
	v_mul_f64 v[24:25], v[88:89], s[28:29]
	ds_write2_b64 v61, v[50:51], v[14:15] offset0:70 offset1:77
	v_mul_f64 v[14:15], v[88:89], s[18:19]
	ds_write2_b64 v61, v[12:13], v[10:11] offset0:84 offset1:91
	v_mul_f64 v[10:11], v[88:89], s[22:23]
	ds_write2_b64 v61, v[8:9], v[6:7] offset0:98 offset1:105
	v_mul_f64 v[6:7], v[88:89], s[30:31]
	v_mul_f64 v[26:27], v[88:89], s[36:37]
	v_accvgpr_read_b32 v31, a15
	v_fmac_f64_e32 v[16:17], s[4:5], v[18:19]
	v_fma_f64 v[42:43], v[18:19], s[6:7], -v[20:21]
	v_fmac_f64_e32 v[20:21], s[6:7], v[18:19]
	v_fma_f64 v[48:49], v[18:19], s[10:11], -v[22:23]
	v_fmac_f64_e32 v[22:23], s[10:11], v[18:19]
	ds_write2_b64 v61, v[72:73], v[80:81] offset0:56 offset1:63
	v_fma_f64 v[72:73], v[18:19], s[14:15], -v[24:25]
	v_fmac_f64_e32 v[24:25], s[14:15], v[18:19]
	v_fma_f64 v[50:51], v[18:19], s[20:21], -v[14:15]
	v_fmac_f64_e32 v[14:15], s[20:21], v[18:19]
	;; [unrolled: 2-line block ×5, first 2 shown]
	v_add_f64 v[18:19], v[234:235], v[90:91]
	v_accvgpr_read_b32 v30, a14
	v_add_f64 v[90:91], v[182:183], -v[54:55]
	v_add_f64 v[88:89], v[30:31], v[52:53]
	v_mul_f64 v[92:93], v[90:91], s[26:27]
	v_fma_f64 v[126:127], v[88:89], s[6:7], -v[92:93]
	v_add_f64 v[16:17], v[234:235], v[16:17]
	v_fmac_f64_e32 v[92:93], s[6:7], v[88:89]
	v_add_f64 v[16:17], v[92:93], v[16:17]
	v_mul_f64 v[92:93], v[90:91], s[28:29]
	v_add_f64 v[18:19], v[126:127], v[18:19]
	v_fma_f64 v[126:127], v[88:89], s[14:15], -v[92:93]
	v_add_f64 v[20:21], v[234:235], v[20:21]
	v_fmac_f64_e32 v[92:93], s[14:15], v[88:89]
	v_add_f64 v[42:43], v[234:235], v[42:43]
	v_add_f64 v[20:21], v[92:93], v[20:21]
	v_mul_f64 v[92:93], v[90:91], s[22:23]
	v_add_f64 v[42:43], v[126:127], v[42:43]
	v_fma_f64 v[126:127], v[88:89], s[24:25], -v[92:93]
	v_add_f64 v[22:23], v[234:235], v[22:23]
	v_fmac_f64_e32 v[92:93], s[24:25], v[88:89]
	v_add_f64 v[48:49], v[234:235], v[48:49]
	v_add_f64 v[22:23], v[92:93], v[22:23]
	v_mul_f64 v[92:93], v[90:91], s[36:37]
	v_add_f64 v[48:49], v[126:127], v[48:49]
	v_fma_f64 v[126:127], v[88:89], s[38:39], -v[92:93]
	v_add_f64 v[24:25], v[234:235], v[24:25]
	v_fmac_f64_e32 v[92:93], s[38:39], v[88:89]
	v_add_f64 v[72:73], v[234:235], v[72:73]
	v_add_f64 v[24:25], v[92:93], v[24:25]
	v_mul_f64 v[92:93], v[90:91], s[50:51]
	v_add_f64 v[72:73], v[126:127], v[72:73]
	v_fma_f64 v[126:127], v[88:89], s[34:35], -v[92:93]
	v_add_f64 v[14:15], v[234:235], v[14:15]
	v_fmac_f64_e32 v[92:93], s[34:35], v[88:89]
	v_add_f64 v[50:51], v[234:235], v[50:51]
	v_add_f64 v[14:15], v[92:93], v[14:15]
	v_mul_f64 v[92:93], v[90:91], s[48:49]
	v_add_f64 v[50:51], v[126:127], v[50:51]
	v_fma_f64 v[126:127], v[88:89], s[20:21], -v[92:93]
	v_add_f64 v[10:11], v[234:235], v[10:11]
	v_fmac_f64_e32 v[92:93], s[20:21], v[88:89]
	v_add_f64 v[12:13], v[234:235], v[12:13]
	v_add_f64 v[10:11], v[92:93], v[10:11]
	v_mul_f64 v[92:93], v[90:91], s[42:43]
	v_add_f64 v[12:13], v[126:127], v[12:13]
	v_fma_f64 v[126:127], v[88:89], s[10:11], -v[92:93]
	v_add_f64 v[6:7], v[234:235], v[6:7]
	v_fmac_f64_e32 v[92:93], s[10:11], v[88:89]
	v_mul_f64 v[90:91], v[90:91], s[44:45]
	v_add_f64 v[6:7], v[92:93], v[6:7]
	v_fma_f64 v[92:93], v[88:89], s[4:5], -v[90:91]
	v_fmac_f64_e32 v[90:91], s[4:5], v[88:89]
	v_add_f64 v[26:27], v[234:235], v[26:27]
	v_add_f64 v[80:81], v[234:235], v[80:81]
	;; [unrolled: 1-line block ×3, first 2 shown]
	v_add_f64 v[90:91], v[168:169], -v[206:207]
	v_add_f64 v[8:9], v[234:235], v[8:9]
	v_add_f64 v[80:81], v[92:93], v[80:81]
	;; [unrolled: 1-line block ×3, first 2 shown]
	v_mul_f64 v[92:93], v[90:91], s[40:41]
	v_add_f64 v[8:9], v[126:127], v[8:9]
	v_fma_f64 v[126:127], v[88:89], s[10:11], -v[92:93]
	v_fmac_f64_e32 v[92:93], s[10:11], v[88:89]
	v_add_f64 v[16:17], v[92:93], v[16:17]
	v_mul_f64 v[92:93], v[90:91], s[22:23]
	v_add_f64 v[18:19], v[126:127], v[18:19]
	v_fma_f64 v[126:127], v[88:89], s[24:25], -v[92:93]
	v_fmac_f64_e32 v[92:93], s[24:25], v[88:89]
	v_add_f64 v[20:21], v[92:93], v[20:21]
	v_mul_f64 v[92:93], v[90:91], s[56:57]
	v_add_f64 v[42:43], v[126:127], v[42:43]
	v_fma_f64 v[126:127], v[88:89], s[38:39], -v[92:93]
	v_fmac_f64_e32 v[92:93], s[38:39], v[88:89]
	v_add_f64 v[22:23], v[92:93], v[22:23]
	v_mul_f64 v[92:93], v[90:91], s[48:49]
	v_add_f64 v[48:49], v[126:127], v[48:49]
	v_fma_f64 v[126:127], v[88:89], s[20:21], -v[92:93]
	v_fmac_f64_e32 v[92:93], s[20:21], v[88:89]
	v_add_f64 v[24:25], v[92:93], v[24:25]
	v_mul_f64 v[92:93], v[90:91], s[46:47]
	v_add_f64 v[72:73], v[126:127], v[72:73]
	v_fma_f64 v[126:127], v[88:89], s[6:7], -v[92:93]
	v_fmac_f64_e32 v[92:93], s[6:7], v[88:89]
	v_add_f64 v[14:15], v[92:93], v[14:15]
	v_mul_f64 v[92:93], v[90:91], s[16:17]
	v_add_f64 v[50:51], v[126:127], v[50:51]
	v_fma_f64 v[126:127], v[88:89], s[4:5], -v[92:93]
	v_fmac_f64_e32 v[92:93], s[4:5], v[88:89]
	v_add_f64 v[10:11], v[92:93], v[10:11]
	v_mul_f64 v[92:93], v[90:91], s[28:29]
	v_add_f64 v[12:13], v[126:127], v[12:13]
	v_fma_f64 v[126:127], v[88:89], s[14:15], -v[92:93]
	v_fmac_f64_e32 v[92:93], s[14:15], v[88:89]
	v_mul_f64 v[90:91], v[90:91], s[30:31]
	v_add_f64 v[6:7], v[92:93], v[6:7]
	v_fma_f64 v[92:93], v[88:89], s[34:35], -v[90:91]
	v_fmac_f64_e32 v[90:91], s[34:35], v[88:89]
	v_add_f64 v[26:27], v[90:91], v[26:27]
	v_add_f64 v[90:91], v[164:165], -v[136:137]
	v_add_f64 v[80:81], v[92:93], v[80:81]
	v_add_f64 v[88:89], v[194:195], v[134:135]
	v_mul_f64 v[92:93], v[90:91], s[28:29]
	v_add_f64 v[8:9], v[126:127], v[8:9]
	v_fma_f64 v[126:127], v[88:89], s[14:15], -v[92:93]
	v_fmac_f64_e32 v[92:93], s[14:15], v[88:89]
	v_add_f64 v[16:17], v[92:93], v[16:17]
	v_mul_f64 v[92:93], v[90:91], s[36:37]
	v_add_f64 v[18:19], v[126:127], v[18:19]
	v_fma_f64 v[126:127], v[88:89], s[38:39], -v[92:93]
	v_fmac_f64_e32 v[92:93], s[38:39], v[88:89]
	v_add_f64 v[20:21], v[92:93], v[20:21]
	v_mul_f64 v[92:93], v[90:91], s[48:49]
	v_add_f64 v[42:43], v[126:127], v[42:43]
	v_fma_f64 v[126:127], v[88:89], s[20:21], -v[92:93]
	v_fmac_f64_e32 v[92:93], s[20:21], v[88:89]
	v_add_f64 v[22:23], v[92:93], v[22:23]
	v_mul_f64 v[92:93], v[90:91], s[44:45]
	v_add_f64 v[48:49], v[126:127], v[48:49]
	v_fma_f64 v[126:127], v[88:89], s[4:5], -v[92:93]
	v_fmac_f64_e32 v[92:93], s[4:5], v[88:89]
	v_add_f64 v[24:25], v[92:93], v[24:25]
	v_mul_f64 v[92:93], v[90:91], s[40:41]
	v_add_f64 v[72:73], v[126:127], v[72:73]
	v_fma_f64 v[126:127], v[88:89], s[10:11], -v[92:93]
	v_fmac_f64_e32 v[92:93], s[10:11], v[88:89]
	v_add_f64 v[14:15], v[92:93], v[14:15]
	v_mul_f64 v[92:93], v[90:91], s[30:31]
	v_add_f64 v[50:51], v[126:127], v[50:51]
	v_fma_f64 v[126:127], v[88:89], s[34:35], -v[92:93]
	v_fmac_f64_e32 v[92:93], s[34:35], v[88:89]
	v_add_f64 v[10:11], v[92:93], v[10:11]
	v_mul_f64 v[92:93], v[90:91], s[54:55]
	v_add_f64 v[12:13], v[126:127], v[12:13]
	v_fma_f64 v[126:127], v[88:89], s[24:25], -v[92:93]
	v_fmac_f64_e32 v[92:93], s[24:25], v[88:89]
	v_mul_f64 v[90:91], v[90:91], s[46:47]
	v_add_f64 v[6:7], v[92:93], v[6:7]
	v_fma_f64 v[92:93], v[88:89], s[6:7], -v[90:91]
	v_fmac_f64_e32 v[90:91], s[6:7], v[88:89]
	v_add_f64 v[26:27], v[90:91], v[26:27]
	v_add_f64 v[90:91], v[158:159], -v[66:67]
	v_add_f64 v[80:81], v[92:93], v[80:81]
	v_add_f64 v[88:89], v[186:187], v[64:65]
	;; [unrolled: 42-line block ×3, first 2 shown]
	v_mul_f64 v[92:93], v[90:91], s[22:23]
	v_add_f64 v[8:9], v[126:127], v[8:9]
	v_fma_f64 v[126:127], v[88:89], s[24:25], -v[92:93]
	v_fmac_f64_e32 v[92:93], s[24:25], v[88:89]
	v_add_f64 v[16:17], v[92:93], v[16:17]
	v_mul_f64 v[92:93], v[90:91], s[48:49]
	v_add_f64 v[18:19], v[126:127], v[18:19]
	v_fma_f64 v[126:127], v[88:89], s[20:21], -v[92:93]
	v_fmac_f64_e32 v[92:93], s[20:21], v[88:89]
	v_add_f64 v[20:21], v[92:93], v[20:21]
	;; [unrolled: 5-line block ×6, first 2 shown]
	v_mul_f64 v[92:93], v[90:91], s[36:37]
	v_add_f64 v[12:13], v[126:127], v[12:13]
	v_fma_f64 v[126:127], v[88:89], s[38:39], -v[92:93]
	v_fmac_f64_e32 v[92:93], s[38:39], v[88:89]
	v_mul_f64 v[90:91], v[90:91], s[42:43]
	v_add_f64 v[6:7], v[92:93], v[6:7]
	v_fma_f64 v[92:93], v[88:89], s[10:11], -v[90:91]
	v_fmac_f64_e32 v[90:91], s[10:11], v[88:89]
	v_accvgpr_read_b32 v167, a11
	v_add_f64 v[26:27], v[90:91], v[26:27]
	v_accvgpr_read_b32 v166, a10
	v_add_f64 v[90:91], v[116:117], -v[78:79]
	v_add_f64 v[80:81], v[92:93], v[80:81]
	v_add_f64 v[88:89], v[166:167], v[76:77]
	v_mul_f64 v[92:93], v[90:91], s[30:31]
	v_add_f64 v[8:9], v[126:127], v[8:9]
	v_fma_f64 v[126:127], v[88:89], s[34:35], -v[92:93]
	v_fmac_f64_e32 v[92:93], s[34:35], v[88:89]
	v_add_f64 v[16:17], v[92:93], v[16:17]
	v_mul_f64 v[92:93], v[90:91], s[42:43]
	v_add_f64 v[18:19], v[126:127], v[18:19]
	v_fma_f64 v[126:127], v[88:89], s[10:11], -v[92:93]
	v_fmac_f64_e32 v[92:93], s[10:11], v[88:89]
	;; [unrolled: 5-line block ×7, first 2 shown]
	v_mul_f64 v[90:91], v[90:91], s[18:19]
	v_add_f64 v[6:7], v[92:93], v[6:7]
	v_fma_f64 v[92:93], v[88:89], s[20:21], -v[90:91]
	v_fmac_f64_e32 v[90:91], s[20:21], v[88:89]
	v_add_f64 v[26:27], v[90:91], v[26:27]
	v_add_f64 v[90:91], v[110:111], -v[86:87]
	v_add_f64 v[80:81], v[92:93], v[80:81]
	v_add_f64 v[88:89], v[154:155], v[84:85]
	v_mul_f64 v[92:93], v[90:91], s[36:37]
	v_add_f64 v[8:9], v[126:127], v[8:9]
	v_fma_f64 v[126:127], v[88:89], s[38:39], -v[92:93]
	v_fmac_f64_e32 v[92:93], s[38:39], v[88:89]
	v_add_f64 v[16:17], v[92:93], v[16:17]
	v_mul_f64 v[92:93], v[90:91], s[44:45]
	v_add_f64 v[18:19], v[126:127], v[18:19]
	v_fma_f64 v[126:127], v[88:89], s[4:5], -v[92:93]
	v_fmac_f64_e32 v[92:93], s[4:5], v[88:89]
	;; [unrolled: 5-line block ×7, first 2 shown]
	v_mul_f64 v[90:91], v[90:91], s[52:53]
	v_add_f64 v[6:7], v[92:93], v[6:7]
	v_fma_f64 v[92:93], v[88:89], s[14:15], -v[90:91]
	v_fmac_f64_e32 v[90:91], s[14:15], v[88:89]
	v_add_f64 v[88:89], v[234:235], v[28:29]
	v_accvgpr_read_b32 v29, a15
	v_accvgpr_read_b32 v28, a14
	v_add_f64 v[88:89], v[88:89], v[28:29]
	v_accvgpr_read_b32 v29, a13
	v_accvgpr_read_b32 v28, a12
	v_add_f64 v[88:89], v[88:89], v[28:29]
	v_add_f64 v[88:89], v[88:89], v[194:195]
	v_add_f64 v[88:89], v[88:89], v[186:187]
	v_add_f64 v[88:89], v[88:89], v[176:177]
	v_add_f64 v[88:89], v[88:89], v[166:167]
	v_add_f64 v[88:89], v[88:89], v[154:155]
	v_add_f64 v[88:89], v[88:89], v[84:85]
	v_add_f64 v[88:89], v[88:89], v[76:77]
	v_add_f64 v[88:89], v[88:89], v[68:69]
	v_add_f64 v[88:89], v[88:89], v[64:65]
	v_add_f64 v[88:89], v[88:89], v[134:135]
	v_accvgpr_mov_b32 a10, a16
	v_accvgpr_mov_b32 a15, a13
	v_add_f64 v[88:89], v[88:89], v[56:57]
	ds_write_b64 v61, v[2:3] offset:896
	v_accvgpr_read_b32 v2, a26
	v_accvgpr_read_b32 v3, a27
	v_mul_f64 v[216:217], v[244:245], v[162:163]
	v_accvgpr_mov_b32 a11, a17
	v_accvgpr_mov_b32 a14, a12
	v_accvgpr_write_b32 a12, v194
	v_accvgpr_write_b32 a8, v186
	;; [unrolled: 1-line block ×3, first 2 shown]
	v_add_f64 v[88:89], v[88:89], v[52:53]
	v_mad_u32_u24 v2, v2, s33, 0
	v_lshlrev_b32_sdwa v3, v209, v3 dst_sel:DWORD dst_unused:UNUSED_PAD src0_sel:DWORD src1_sel:BYTE_0
	v_fmac_f64_e32 v[216:217], v[246:247], v[160:161]
	v_accvgpr_write_b32 a13, v195
	v_accvgpr_write_b32 a9, v187
	v_accvgpr_write_b32 a17, v177
	v_add_f64 v[88:89], v[88:89], v[44:45]
	v_add3_u32 v208, v2, v3, v232
	v_add_f64 v[8:9], v[126:127], v[8:9]
	v_add_f64 v[80:81], v[92:93], v[80:81]
	;; [unrolled: 1-line block ×3, first 2 shown]
	ds_write2_b64 v208, v[88:89], v[18:19] offset1:7
	ds_write2_b64 v208, v[42:43], v[48:49] offset0:14 offset1:21
	ds_write2_b64 v208, v[72:73], v[50:51] offset0:28 offset1:35
	;; [unrolled: 1-line block ×7, first 2 shown]
	ds_write_b64 v208, v[16:17] offset:896
	s_and_saveexec_b64 s[58:59], s[0:1]
	s_cbranch_execz .LBB0_18
; %bb.17:
	v_accvgpr_write_b32 a42, v64
	v_accvgpr_write_b32 a72, v134
	;; [unrolled: 1-line block ×4, first 2 shown]
	v_accvgpr_read_b32 v65, a35
	v_accvgpr_write_b32 a36, v68
	v_accvgpr_write_b32 a73, v135
	v_accvgpr_read_b32 v135, a71
	v_accvgpr_write_b32 a77, v203
	v_accvgpr_read_b32 v203, a75
	v_accvgpr_read_b32 v64, a34
	v_accvgpr_write_b32 a37, v69
	v_accvgpr_read_b32 v69, a33
	v_accvgpr_read_b32 v253, a69
	;; [unrolled: 1-line block ×4, first 2 shown]
	v_add_f64 v[92:93], v[210:211], -v[216:217]
	v_add_f64 v[8:9], v[172:173], v[64:65]
	v_accvgpr_write_b32 a30, v76
	v_accvgpr_write_b32 a58, v138
	v_accvgpr_read_b32 v199, a23
	v_accvgpr_read_b32 v251, a67
	;; [unrolled: 1-line block ×4, first 2 shown]
	v_add_f64 v[88:89], v[118:119], -v[148:149]
	v_add_f64 v[22:23], v[134:135], v[202:203]
	v_pk_mov_b32 v[194:195], v[172:173], v[172:173] op_sel:[0,1]
	v_mul_f64 v[172:173], v[92:93], s[36:37]
	v_add_f64 v[6:7], v[122:123], v[170:171]
	v_accvgpr_write_b32 a26, v84
	v_accvgpr_write_b32 a54, v152
	;; [unrolled: 1-line block ×3, first 2 shown]
	v_accvgpr_read_b32 v77, a29
	v_accvgpr_write_b32 a59, v139
	v_accvgpr_read_b32 v139, a51
	v_accvgpr_read_b32 v198, a22
	;; [unrolled: 1-line block ×3, first 2 shown]
	v_add_f64 v[80:81], v[96:97], -v[132:133]
	v_add_f64 v[20:21], v[68:69], v[252:253]
	v_mul_f64 v[244:245], v[88:89], s[44:45]
	v_pk_mov_b32 v[190:191], v[170:171], v[170:171] op_sel:[0,1]
	v_fma_f64 v[170:171], s[38:39], v[22:23], v[172:173]
	v_accvgpr_write_b32 a27, v85
	v_accvgpr_read_b32 v85, a25
	v_accvgpr_write_b32 a55, v153
	v_accvgpr_read_b32 v153, a41
	v_accvgpr_read_b32 v76, a28
	;; [unrolled: 1-line block ×3, first 2 shown]
	v_add_f64 v[72:73], v[104:105], -v[128:129]
	v_add_f64 v[16:17], v[198:199], v[250:251]
	v_mul_f64 v[234:235], v[80:81], s[30:31]
	v_fma_f64 v[246:247], s[4:5], v[20:21], v[244:245]
	v_add_f64 v[170:171], v[4:5], v[170:171]
	v_accvgpr_read_b32 v187, a21
	v_pk_mov_b32 v[254:255], v[114:115], v[114:115] op_sel:[0,1]
	v_accvgpr_read_b32 v115, a39
	v_accvgpr_read_b32 v84, a24
	;; [unrolled: 1-line block ×3, first 2 shown]
	v_add_f64 v[50:51], v[100:101], -v[124:125]
	v_add_f64 v[14:15], v[76:77], v[138:139]
	v_mul_f64 v[160:161], v[72:73], s[46:47]
	v_fma_f64 v[236:237], s[34:35], v[16:17], v[234:235]
	v_add_f64 v[170:171], v[246:247], v[170:171]
	v_accvgpr_read_b32 v186, a20
	v_accvgpr_read_b32 v114, a38
	v_add_f64 v[48:49], v[58:59], -v[120:121]
	v_add_f64 v[12:13], v[84:85], v[152:153]
	v_mul_f64 v[142:143], v[50:51], s[22:23]
	v_fma_f64 v[162:163], s[6:7], v[14:15], v[160:161]
	v_add_f64 v[170:171], v[236:237], v[170:171]
	v_add_f64 v[42:43], v[94:95], -v[82:83]
	v_add_f64 v[10:11], v[186:187], v[114:115]
	v_mul_f64 v[126:127], v[48:49], s[42:43]
	v_fma_f64 v[144:145], s[24:25], v[12:13], v[142:143]
	v_add_f64 v[162:163], v[162:163], v[170:171]
	v_mul_f64 v[26:27], v[42:43], s[18:19]
	v_fma_f64 v[130:131], s[10:11], v[10:11], v[126:127]
	v_add_f64 v[144:145], v[144:145], v[162:163]
	v_add_f64 v[24:25], v[32:33], -v[62:63]
	v_fma_f64 v[90:91], s[20:21], v[8:9], v[26:27]
	v_add_f64 v[130:131], v[130:131], v[144:145]
	v_mul_f64 v[18:19], v[24:25], s[52:53]
	v_add_f64 v[90:91], v[90:91], v[130:131]
	v_fma_f64 v[130:131], v[14:15], s[6:7], -v[160:161]
	v_fma_f64 v[160:161], v[22:23], s[38:39], -v[172:173]
	v_mul_f64 v[98:99], v[92:93], s[30:31]
	v_fma_f64 v[2:3], s[14:15], v[6:7], v[18:19]
	v_fma_f64 v[144:145], v[20:21], s[4:5], -v[244:245]
	v_add_f64 v[160:161], v[4:5], v[160:161]
	v_mul_f64 v[244:245], v[88:89], s[42:43]
	v_fma_f64 v[102:103], s[34:35], v[22:23], v[98:99]
	v_add_f64 v[2:3], v[2:3], v[90:91]
	v_fma_f64 v[90:91], v[10:11], s[10:11], -v[126:127]
	v_fma_f64 v[126:127], v[12:13], s[24:25], -v[142:143]
	;; [unrolled: 1-line block ×3, first 2 shown]
	v_add_f64 v[144:145], v[144:145], v[160:161]
	v_mul_f64 v[234:235], v[80:81], s[28:29]
	v_fma_f64 v[246:247], s[10:11], v[20:21], v[244:245]
	v_add_f64 v[102:103], v[4:5], v[102:103]
	v_add_f64 v[142:143], v[142:143], v[144:145]
	v_mul_f64 v[170:171], v[72:73], s[54:55]
	v_fma_f64 v[236:237], s[14:15], v[16:17], v[234:235]
	v_add_f64 v[102:103], v[246:247], v[102:103]
	;; [unrolled: 4-line block ×4, first 2 shown]
	v_fma_f64 v[26:27], v[8:9], s[20:21], -v[26:27]
	v_add_f64 v[90:91], v[90:91], v[126:127]
	v_mul_f64 v[126:127], v[42:43], s[46:47]
	v_fma_f64 v[144:145], s[38:39], v[10:11], v[142:143]
	v_add_f64 v[102:103], v[162:163], v[102:103]
	v_fma_f64 v[18:19], v[6:7], s[14:15], -v[18:19]
	v_add_f64 v[26:27], v[26:27], v[90:91]
	v_fma_f64 v[130:131], s[6:7], v[8:9], v[126:127]
	v_add_f64 v[102:103], v[144:145], v[102:103]
	v_fma_f64 v[98:99], v[22:23], s[34:35], -v[98:99]
	v_add_f64 v[18:19], v[18:19], v[26:27]
	v_mul_f64 v[26:27], v[24:25], s[18:19]
	v_add_f64 v[102:103], v[130:131], v[102:103]
	v_fma_f64 v[130:131], v[12:13], s[4:5], -v[160:161]
	v_fma_f64 v[160:161], v[20:21], s[10:11], -v[244:245]
	v_add_f64 v[98:99], v[4:5], v[98:99]
	v_mul_f64 v[106:107], v[92:93], s[22:23]
	v_fma_f64 v[90:91], s[20:21], v[6:7], v[26:27]
	v_fma_f64 v[144:145], v[16:17], s[14:15], -v[234:235]
	v_add_f64 v[98:99], v[160:161], v[98:99]
	v_mul_f64 v[244:245], v[88:89], s[48:49]
	v_fma_f64 v[74:75], s[24:25], v[22:23], v[106:107]
	v_add_f64 v[90:91], v[90:91], v[102:103]
	v_fma_f64 v[102:103], v[8:9], s[6:7], -v[126:127]
	v_fma_f64 v[126:127], v[10:11], s[38:39], -v[142:143]
	;; [unrolled: 1-line block ×3, first 2 shown]
	v_add_f64 v[98:99], v[144:145], v[98:99]
	v_mul_f64 v[172:173], v[80:81], s[16:17]
	v_fma_f64 v[246:247], s[20:21], v[20:21], v[244:245]
	v_add_f64 v[74:75], v[4:5], v[74:75]
	v_add_f64 v[98:99], v[142:143], v[98:99]
	v_mul_f64 v[162:163], v[72:73], s[30:31]
	v_fma_f64 v[236:237], s[4:5], v[16:17], v[172:173]
	v_add_f64 v[74:75], v[246:247], v[74:75]
	;; [unrolled: 4-line block ×5, first 2 shown]
	v_fma_f64 v[26:27], v[6:7], s[20:21], -v[26:27]
	v_fma_f64 v[126:127], s[38:39], v[8:9], v[102:103]
	v_add_f64 v[74:75], v[142:143], v[74:75]
	v_fma_f64 v[106:107], v[22:23], s[24:25], -v[106:107]
	v_mul_f64 v[40:41], v[92:93], s[18:19]
	v_add_f64 v[234:235], v[26:27], v[98:99]
	v_mul_f64 v[26:27], v[24:25], s[42:43]
	v_add_f64 v[74:75], v[126:127], v[74:75]
	v_fma_f64 v[126:127], v[12:13], s[14:15], -v[144:145]
	v_fma_f64 v[144:145], v[20:21], s[20:21], -v[244:245]
	v_add_f64 v[106:107], v[4:5], v[106:107]
	v_mul_f64 v[244:245], v[88:89], s[50:51]
	v_pk_mov_b32 v[176:177], v[122:123], v[122:123] op_sel:[0,1]
	v_fma_f64 v[122:123], s[20:21], v[22:23], v[40:41]
	v_fma_f64 v[98:99], s[10:11], v[6:7], v[26:27]
	v_fma_f64 v[142:143], v[16:17], s[4:5], -v[172:173]
	v_add_f64 v[106:107], v[144:145], v[106:107]
	v_mul_f64 v[172:173], v[80:81], s[46:47]
	v_fma_f64 v[246:247], s[34:35], v[20:21], v[244:245]
	v_add_f64 v[122:123], v[4:5], v[122:123]
	v_add_f64 v[74:75], v[98:99], v[74:75]
	v_fma_f64 v[98:99], v[8:9], s[38:39], -v[102:103]
	v_fma_f64 v[102:103], v[10:11], s[6:7], -v[130:131]
	v_fma_f64 v[130:131], v[14:15], s[34:35], -v[162:163]
	v_add_f64 v[106:107], v[142:143], v[106:107]
	v_mul_f64 v[162:163], v[72:73], s[40:41]
	v_fma_f64 v[236:237], s[6:7], v[16:17], v[172:173]
	v_add_f64 v[122:123], v[246:247], v[122:123]
	v_add_f64 v[106:107], v[130:131], v[106:107]
	v_mul_f64 v[144:145], v[50:51], s[36:37]
	v_fma_f64 v[170:171], s[10:11], v[14:15], v[162:163]
	v_add_f64 v[122:123], v[236:237], v[122:123]
	;; [unrolled: 4-line block ×4, first 2 shown]
	v_fma_f64 v[26:27], v[6:7], s[10:11], -v[26:27]
	v_add_f64 v[98:99], v[98:99], v[102:103]
	v_fma_f64 v[126:127], s[4:5], v[8:9], v[106:107]
	v_add_f64 v[122:123], v[142:143], v[122:123]
	v_fma_f64 v[40:41], v[22:23], s[20:21], -v[40:41]
	v_mul_f64 v[36:37], v[92:93], s[28:29]
	v_add_f64 v[26:27], v[26:27], v[98:99]
	v_mul_f64 v[98:99], v[24:25], s[22:23]
	v_add_f64 v[122:123], v[126:127], v[122:123]
	v_fma_f64 v[126:127], v[12:13], s[38:39], -v[144:145]
	v_fma_f64 v[144:145], v[20:21], s[34:35], -v[244:245]
	v_add_f64 v[40:41], v[4:5], v[40:41]
	v_mul_f64 v[244:245], v[88:89], s[36:37]
	v_fma_f64 v[38:39], s[14:15], v[22:23], v[36:37]
	v_fma_f64 v[102:103], s[24:25], v[6:7], v[98:99]
	v_fma_f64 v[142:143], v[16:17], s[6:7], -v[172:173]
	v_add_f64 v[40:41], v[144:145], v[40:41]
	v_mul_f64 v[172:173], v[80:81], s[48:49]
	v_fma_f64 v[246:247], s[38:39], v[20:21], v[244:245]
	v_add_f64 v[38:39], v[4:5], v[38:39]
	v_add_f64 v[102:103], v[102:103], v[122:123]
	v_fma_f64 v[122:123], v[10:11], s[14:15], -v[130:131]
	v_fma_f64 v[130:131], v[14:15], s[10:11], -v[162:163]
	v_add_f64 v[40:41], v[142:143], v[40:41]
	v_mul_f64 v[162:163], v[72:73], s[44:45]
	v_fma_f64 v[236:237], s[20:21], v[16:17], v[172:173]
	v_add_f64 v[38:39], v[246:247], v[38:39]
	v_add_f64 v[40:41], v[130:131], v[40:41]
	v_mul_f64 v[144:145], v[50:51], s[40:41]
	v_fma_f64 v[170:171], s[4:5], v[14:15], v[162:163]
	v_add_f64 v[38:39], v[236:237], v[38:39]
	;; [unrolled: 4-line block ×3, first 2 shown]
	v_fma_f64 v[106:107], v[8:9], s[4:5], -v[106:107]
	v_add_f64 v[40:41], v[122:123], v[40:41]
	v_mul_f64 v[122:123], v[42:43], s[54:55]
	v_fma_f64 v[142:143], s[34:35], v[10:11], v[130:131]
	v_add_f64 v[38:39], v[160:161], v[38:39]
	v_fma_f64 v[98:99], v[6:7], s[24:25], -v[98:99]
	v_add_f64 v[40:41], v[106:107], v[40:41]
	v_fma_f64 v[126:127], s[24:25], v[8:9], v[122:123]
	v_add_f64 v[38:39], v[142:143], v[38:39]
	v_fma_f64 v[36:37], v[22:23], s[14:15], -v[36:37]
	v_mul_f64 v[28:29], v[92:93], s[40:41]
	v_add_f64 v[40:41], v[98:99], v[40:41]
	v_mul_f64 v[98:99], v[24:25], s[46:47]
	v_add_f64 v[38:39], v[126:127], v[38:39]
	v_fma_f64 v[126:127], v[12:13], s[10:11], -v[144:145]
	v_fma_f64 v[144:145], v[20:21], s[38:39], -v[244:245]
	v_add_f64 v[36:37], v[4:5], v[36:37]
	v_mul_f64 v[244:245], v[88:89], s[22:23]
	v_fma_f64 v[34:35], s[10:11], v[22:23], v[28:29]
	v_fma_f64 v[106:107], s[6:7], v[6:7], v[98:99]
	v_fma_f64 v[142:143], v[16:17], s[20:21], -v[172:173]
	v_add_f64 v[36:37], v[144:145], v[36:37]
	v_mul_f64 v[172:173], v[80:81], s[56:57]
	v_fma_f64 v[246:247], s[24:25], v[20:21], v[244:245]
	v_add_f64 v[34:35], v[4:5], v[34:35]
	v_add_f64 v[38:39], v[106:107], v[38:39]
	v_fma_f64 v[106:107], v[8:9], s[24:25], -v[122:123]
	v_fma_f64 v[122:123], v[10:11], s[34:35], -v[130:131]
	;; [unrolled: 1-line block ×3, first 2 shown]
	v_add_f64 v[36:37], v[142:143], v[36:37]
	v_mul_f64 v[162:163], v[72:73], s[48:49]
	v_fma_f64 v[236:237], s[38:39], v[16:17], v[172:173]
	v_add_f64 v[34:35], v[246:247], v[34:35]
	v_add_f64 v[36:37], v[130:131], v[36:37]
	v_mul_f64 v[144:145], v[50:51], s[46:47]
	v_fma_f64 v[170:171], s[20:21], v[14:15], v[162:163]
	v_add_f64 v[34:35], v[236:237], v[34:35]
	;; [unrolled: 4-line block ×4, first 2 shown]
	v_fma_f64 v[98:99], v[6:7], s[6:7], -v[98:99]
	v_add_f64 v[36:37], v[106:107], v[36:37]
	v_fma_f64 v[126:127], s[14:15], v[8:9], v[122:123]
	v_add_f64 v[34:35], v[142:143], v[34:35]
	v_fma_f64 v[28:29], v[22:23], s[10:11], -v[28:29]
	v_mul_f64 v[30:31], v[92:93], s[26:27]
	v_add_f64 v[36:37], v[98:99], v[36:37]
	v_mul_f64 v[98:99], v[24:25], s[30:31]
	v_add_f64 v[34:35], v[126:127], v[34:35]
	v_fma_f64 v[126:127], v[12:13], s[6:7], -v[144:145]
	v_fma_f64 v[144:145], v[20:21], s[24:25], -v[244:245]
	v_add_f64 v[28:29], v[4:5], v[28:29]
	v_mul_f64 v[244:245], v[88:89], s[28:29]
	v_fma_f64 v[108:109], s[6:7], v[22:23], v[30:31]
	v_fma_f64 v[106:107], s[34:35], v[6:7], v[98:99]
	v_fma_f64 v[142:143], v[16:17], s[38:39], -v[172:173]
	v_add_f64 v[28:29], v[144:145], v[28:29]
	v_mul_f64 v[172:173], v[80:81], s[22:23]
	v_fma_f64 v[246:247], s[14:15], v[20:21], v[244:245]
	v_add_f64 v[108:109], v[4:5], v[108:109]
	v_add_f64 v[34:35], v[106:107], v[34:35]
	v_fma_f64 v[106:107], v[8:9], s[14:15], -v[122:123]
	v_fma_f64 v[122:123], v[10:11], s[4:5], -v[130:131]
	;; [unrolled: 1-line block ×3, first 2 shown]
	v_add_f64 v[28:29], v[142:143], v[28:29]
	v_mul_f64 v[162:163], v[72:73], s[36:37]
	v_fma_f64 v[236:237], s[24:25], v[16:17], v[172:173]
	v_add_f64 v[108:109], v[246:247], v[108:109]
	v_add_f64 v[28:29], v[130:131], v[28:29]
	v_mul_f64 v[144:145], v[50:51], s[50:51]
	v_fma_f64 v[170:171], s[38:39], v[14:15], v[162:163]
	v_add_f64 v[108:109], v[236:237], v[108:109]
	;; [unrolled: 4-line block ×4, first 2 shown]
	v_fma_f64 v[98:99], v[6:7], s[34:35], -v[98:99]
	v_add_f64 v[28:29], v[106:107], v[28:29]
	v_fma_f64 v[126:127], s[10:11], v[8:9], v[122:123]
	v_add_f64 v[108:109], v[142:143], v[108:109]
	v_fma_f64 v[30:31], v[22:23], s[6:7], -v[30:31]
	v_mul_f64 v[92:93], v[92:93], s[16:17]
	v_add_f64 v[28:29], v[98:99], v[28:29]
	v_mul_f64 v[98:99], v[24:25], s[44:45]
	v_add_f64 v[108:109], v[126:127], v[108:109]
	v_fma_f64 v[126:127], v[12:13], s[34:35], -v[144:145]
	v_fma_f64 v[144:145], v[20:21], s[14:15], -v[244:245]
	v_add_f64 v[30:31], v[4:5], v[30:31]
	v_mul_f64 v[88:89], v[88:89], s[26:27]
	v_fma_f64 v[160:161], s[4:5], v[22:23], v[92:93]
	v_fma_f64 v[22:23], v[22:23], s[4:5], -v[92:93]
	v_fma_f64 v[106:107], s[4:5], v[6:7], v[98:99]
	v_fma_f64 v[142:143], v[16:17], s[24:25], -v[172:173]
	v_add_f64 v[30:31], v[144:145], v[30:31]
	v_mul_f64 v[80:81], v[80:81], s[40:41]
	v_fma_f64 v[144:145], s[6:7], v[20:21], v[88:89]
	v_add_f64 v[160:161], v[4:5], v[160:161]
	v_add_f64 v[22:23], v[4:5], v[22:23]
	v_add_f64 v[4:5], v[4:5], v[134:135]
	v_add_f64 v[106:107], v[106:107], v[108:109]
	v_fma_f64 v[108:109], v[8:9], s[10:11], -v[122:123]
	v_fma_f64 v[122:123], v[10:11], s[20:21], -v[130:131]
	;; [unrolled: 1-line block ×3, first 2 shown]
	v_add_f64 v[30:31], v[142:143], v[30:31]
	v_mul_f64 v[72:73], v[72:73], s[28:29]
	v_fma_f64 v[142:143], s[10:11], v[16:17], v[80:81]
	v_add_f64 v[144:145], v[144:145], v[160:161]
	v_add_f64 v[4:5], v[4:5], v[68:69]
	v_add_f64 v[30:31], v[130:131], v[30:31]
	v_mul_f64 v[50:51], v[50:51], s[18:19]
	v_fma_f64 v[130:131], s[14:15], v[14:15], v[72:73]
	v_add_f64 v[142:143], v[142:143], v[144:145]
	v_add_f64 v[4:5], v[4:5], v[198:199]
	;; [unrolled: 5-line block ×4, first 2 shown]
	v_pk_mov_b32 v[172:173], v[194:195], v[194:195] op_sel:[0,1]
	v_add_f64 v[30:31], v[108:109], v[30:31]
	v_fma_f64 v[108:109], s[34:35], v[8:9], v[42:43]
	v_add_f64 v[122:123], v[122:123], v[126:127]
	v_fma_f64 v[20:21], v[20:21], s[6:7], -v[88:89]
	v_add_f64 v[4:5], v[4:5], v[186:187]
	v_add_f64 v[108:109], v[108:109], v[122:123]
	v_pk_mov_b32 v[122:123], v[176:177], v[176:177] op_sel:[0,1]
	v_fma_f64 v[16:17], v[16:17], s[10:11], -v[80:81]
	v_add_f64 v[20:21], v[20:21], v[22:23]
	v_add_f64 v[4:5], v[4:5], v[172:173]
	v_pk_mov_b32 v[170:171], v[190:191], v[190:191] op_sel:[0,1]
	v_fma_f64 v[14:15], v[14:15], s[14:15], -v[72:73]
	v_add_f64 v[16:17], v[16:17], v[20:21]
	v_add_f64 v[4:5], v[4:5], v[122:123]
	v_fma_f64 v[12:13], v[12:13], s[20:21], -v[50:51]
	v_add_f64 v[14:15], v[14:15], v[16:17]
	v_add_f64 v[4:5], v[4:5], v[170:171]
	;; [unrolled: 3-line block ×3, first 2 shown]
	v_fma_f64 v[98:99], v[6:7], s[4:5], -v[98:99]
	v_mul_f64 v[24:25], v[24:25], s[36:37]
	v_fma_f64 v[8:9], v[8:9], s[34:35], -v[42:43]
	v_add_f64 v[10:11], v[10:11], v[12:13]
	v_add_f64 v[4:5], v[4:5], v[114:115]
	;; [unrolled: 1-line block ×3, first 2 shown]
	v_fma_f64 v[98:99], s[38:39], v[6:7], v[24:25]
	v_fma_f64 v[6:7], v[6:7], s[38:39], -v[24:25]
	v_add_f64 v[8:9], v[8:9], v[10:11]
	v_add_f64 v[4:5], v[4:5], v[152:153]
	;; [unrolled: 1-line block ×4, first 2 shown]
	v_accvgpr_read_b32 v8, a7
	v_add_f64 v[4:5], v[4:5], v[250:251]
	v_lshlrev_b32_sdwa v8, v209, v8 dst_sel:DWORD dst_unused:UNUSED_PAD src0_sel:DWORD src1_sel:BYTE_0
	v_add_f64 v[4:5], v[4:5], v[252:253]
	v_add3_u32 v8, 0, v8, v232
	v_accvgpr_read_b32 v135, a73
	v_accvgpr_read_b32 v69, a37
	;; [unrolled: 1-line block ×7, first 2 shown]
	v_add_f64 v[4:5], v[4:5], v[202:203]
	v_accvgpr_read_b32 v203, a77
	v_add_u32_e32 v9, 0x800, v8
	v_accvgpr_read_b32 v134, a72
	v_accvgpr_read_b32 v68, a36
	v_accvgpr_read_b32 v76, a30
	v_accvgpr_read_b32 v84, a26
	v_accvgpr_read_b32 v64, a42
	v_pk_mov_b32 v[114:115], v[254:255], v[254:255] op_sel:[0,1]
	v_accvgpr_read_b32 v152, a54
	v_accvgpr_read_b32 v138, a58
	;; [unrolled: 1-line block ×3, first 2 shown]
	ds_write2_b64 v9, v[4:5], v[6:7] offset0:220 offset1:227
	ds_write2_b64 v9, v[30:31], v[28:29] offset0:234 offset1:241
	;; [unrolled: 1-line block ×3, first 2 shown]
	v_add_u32_e32 v4, 0x1000, v8
	v_add_f64 v[98:99], v[98:99], v[108:109]
	ds_write2_b64 v4, v[26:27], v[234:235] offset0:6 offset1:13
	ds_write2_b64 v4, v[18:19], v[2:3] offset0:20 offset1:27
	;; [unrolled: 1-line block ×5, first 2 shown]
	ds_write_b64 v8, v[98:99] offset:4704
.LBB0_18:
	s_or_b64 exec, exec, s[58:59]
	v_add_f64 v[2:3], v[174:175], v[188:189]
	v_add_f64 v[2:3], v[2:3], v[200:201]
	;; [unrolled: 1-line block ×13, first 2 shown]
	v_accvgpr_read_b32 v4, a48
	v_add_f64 v[2:3], v[2:3], v[228:229]
	v_accvgpr_read_b32 v5, a49
	v_accvgpr_read_b32 v38, a62
	v_add_f64 v[2:3], v[2:3], v[238:239]
	v_add_f64 v[4:5], v[4:5], -v[240:241]
	v_accvgpr_read_b32 v39, a63
	v_add_f64 v[234:235], v[2:3], v[242:243]
	v_add_f64 v[2:3], v[188:189], v[242:243]
	v_mul_f64 v[6:7], v[4:5], s[16:17]
	v_mul_f64 v[10:11], v[4:5], s[26:27]
	;; [unrolled: 1-line block ×8, first 2 shown]
	v_add_f64 v[38:39], v[38:39], -v[230:231]
	v_fma_f64 v[8:9], s[4:5], v[2:3], v[6:7]
	v_fma_f64 v[6:7], v[2:3], s[4:5], -v[6:7]
	v_fma_f64 v[12:13], s[6:7], v[2:3], v[10:11]
	v_fma_f64 v[10:11], v[2:3], s[6:7], -v[10:11]
	;; [unrolled: 2-line block ×8, first 2 shown]
	v_add_f64 v[4:5], v[200:201], v[238:239]
	v_mul_f64 v[40:41], v[38:39], s[26:27]
	v_add_f64 v[6:7], v[174:175], v[6:7]
	v_fma_f64 v[42:43], s[6:7], v[4:5], v[40:41]
	v_fma_f64 v[40:41], v[4:5], s[6:7], -v[40:41]
	v_add_f64 v[8:9], v[174:175], v[8:9]
	v_add_f64 v[6:7], v[40:41], v[6:7]
	v_mul_f64 v[40:41], v[38:39], s[28:29]
	v_add_f64 v[10:11], v[174:175], v[10:11]
	v_add_f64 v[8:9], v[42:43], v[8:9]
	v_fma_f64 v[42:43], s[14:15], v[4:5], v[40:41]
	v_fma_f64 v[40:41], v[4:5], s[14:15], -v[40:41]
	v_add_f64 v[12:13], v[174:175], v[12:13]
	v_add_f64 v[10:11], v[40:41], v[10:11]
	v_mul_f64 v[40:41], v[38:39], s[22:23]
	v_add_f64 v[14:15], v[174:175], v[14:15]
	;; [unrolled: 7-line block ×6, first 2 shown]
	v_add_f64 v[28:29], v[42:43], v[28:29]
	v_fma_f64 v[42:43], s[10:11], v[4:5], v[40:41]
	v_fma_f64 v[40:41], v[4:5], s[10:11], -v[40:41]
	v_mul_f64 v[38:39], v[38:39], s[44:45]
	v_add_f64 v[30:31], v[40:41], v[30:31]
	v_fma_f64 v[40:41], s[4:5], v[4:5], v[38:39]
	v_fma_f64 v[4:5], v[4:5], s[4:5], -v[38:39]
	v_accvgpr_read_b32 v38, a56
	v_accvgpr_read_b32 v39, a57
	v_add_f64 v[36:37], v[174:175], v[36:37]
	v_add_f64 v[2:3], v[174:175], v[2:3]
	v_add_f64 v[38:39], v[38:39], -v[226:227]
	v_add_f64 v[34:35], v[174:175], v[34:35]
	v_add_f64 v[36:37], v[40:41], v[36:37]
	v_add_f64 v[2:3], v[4:5], v[2:3]
	v_add_f64 v[4:5], v[196:197], v[228:229]
	v_mul_f64 v[40:41], v[38:39], s[40:41]
	v_add_f64 v[34:35], v[42:43], v[34:35]
	v_fma_f64 v[42:43], s[10:11], v[4:5], v[40:41]
	v_fma_f64 v[40:41], v[4:5], s[10:11], -v[40:41]
	v_add_f64 v[6:7], v[40:41], v[6:7]
	v_mul_f64 v[40:41], v[38:39], s[22:23]
	v_add_f64 v[8:9], v[42:43], v[8:9]
	v_fma_f64 v[42:43], s[24:25], v[4:5], v[40:41]
	v_fma_f64 v[40:41], v[4:5], s[24:25], -v[40:41]
	v_add_f64 v[10:11], v[40:41], v[10:11]
	v_mul_f64 v[40:41], v[38:39], s[56:57]
	v_add_f64 v[12:13], v[42:43], v[12:13]
	v_fma_f64 v[42:43], s[38:39], v[4:5], v[40:41]
	v_fma_f64 v[40:41], v[4:5], s[38:39], -v[40:41]
	v_add_f64 v[14:15], v[40:41], v[14:15]
	v_mul_f64 v[40:41], v[38:39], s[48:49]
	v_add_f64 v[16:17], v[42:43], v[16:17]
	v_fma_f64 v[42:43], s[20:21], v[4:5], v[40:41]
	v_fma_f64 v[40:41], v[4:5], s[20:21], -v[40:41]
	v_add_f64 v[18:19], v[40:41], v[18:19]
	v_mul_f64 v[40:41], v[38:39], s[46:47]
	v_add_f64 v[20:21], v[42:43], v[20:21]
	v_fma_f64 v[42:43], s[6:7], v[4:5], v[40:41]
	v_fma_f64 v[40:41], v[4:5], s[6:7], -v[40:41]
	v_add_f64 v[22:23], v[40:41], v[22:23]
	v_mul_f64 v[40:41], v[38:39], s[16:17]
	v_add_f64 v[24:25], v[42:43], v[24:25]
	v_fma_f64 v[42:43], s[4:5], v[4:5], v[40:41]
	v_fma_f64 v[40:41], v[4:5], s[4:5], -v[40:41]
	v_add_f64 v[26:27], v[40:41], v[26:27]
	v_mul_f64 v[40:41], v[38:39], s[28:29]
	v_add_f64 v[28:29], v[42:43], v[28:29]
	v_fma_f64 v[42:43], s[14:15], v[4:5], v[40:41]
	v_fma_f64 v[40:41], v[4:5], s[14:15], -v[40:41]
	v_mul_f64 v[38:39], v[38:39], s[30:31]
	v_add_f64 v[30:31], v[40:41], v[30:31]
	v_fma_f64 v[40:41], s[34:35], v[4:5], v[38:39]
	v_fma_f64 v[4:5], v[4:5], s[34:35], -v[38:39]
	v_accvgpr_read_b32 v38, a52
	v_accvgpr_read_b32 v39, a53
	v_add_f64 v[38:39], v[38:39], -v[222:223]
	v_add_f64 v[36:37], v[40:41], v[36:37]
	v_add_f64 v[2:3], v[4:5], v[2:3]
	v_add_f64 v[4:5], v[192:193], v[224:225]
	v_mul_f64 v[40:41], v[38:39], s[28:29]
	v_add_f64 v[34:35], v[42:43], v[34:35]
	v_fma_f64 v[42:43], s[14:15], v[4:5], v[40:41]
	v_fma_f64 v[40:41], v[4:5], s[14:15], -v[40:41]
	v_add_f64 v[6:7], v[40:41], v[6:7]
	v_mul_f64 v[40:41], v[38:39], s[36:37]
	v_add_f64 v[8:9], v[42:43], v[8:9]
	v_fma_f64 v[42:43], s[38:39], v[4:5], v[40:41]
	v_fma_f64 v[40:41], v[4:5], s[38:39], -v[40:41]
	v_add_f64 v[10:11], v[40:41], v[10:11]
	v_mul_f64 v[40:41], v[38:39], s[48:49]
	v_add_f64 v[12:13], v[42:43], v[12:13]
	v_fma_f64 v[42:43], s[20:21], v[4:5], v[40:41]
	v_fma_f64 v[40:41], v[4:5], s[20:21], -v[40:41]
	v_add_f64 v[14:15], v[40:41], v[14:15]
	v_mul_f64 v[40:41], v[38:39], s[44:45]
	v_add_f64 v[16:17], v[42:43], v[16:17]
	v_fma_f64 v[42:43], s[4:5], v[4:5], v[40:41]
	v_fma_f64 v[40:41], v[4:5], s[4:5], -v[40:41]
	v_add_f64 v[18:19], v[40:41], v[18:19]
	v_mul_f64 v[40:41], v[38:39], s[40:41]
	v_add_f64 v[20:21], v[42:43], v[20:21]
	v_fma_f64 v[42:43], s[10:11], v[4:5], v[40:41]
	v_fma_f64 v[40:41], v[4:5], s[10:11], -v[40:41]
	v_add_f64 v[22:23], v[40:41], v[22:23]
	v_mul_f64 v[40:41], v[38:39], s[30:31]
	v_add_f64 v[24:25], v[42:43], v[24:25]
	v_fma_f64 v[42:43], s[34:35], v[4:5], v[40:41]
	v_fma_f64 v[40:41], v[4:5], s[34:35], -v[40:41]
	v_add_f64 v[26:27], v[40:41], v[26:27]
	v_mul_f64 v[40:41], v[38:39], s[54:55]
	v_add_f64 v[28:29], v[42:43], v[28:29]
	v_fma_f64 v[42:43], s[24:25], v[4:5], v[40:41]
	v_fma_f64 v[40:41], v[4:5], s[24:25], -v[40:41]
	v_mul_f64 v[38:39], v[38:39], s[46:47]
	v_add_f64 v[30:31], v[40:41], v[30:31]
	v_fma_f64 v[40:41], s[6:7], v[4:5], v[38:39]
	v_fma_f64 v[4:5], v[4:5], s[6:7], -v[38:39]
	v_accvgpr_read_b32 v38, a44
	v_accvgpr_read_b32 v39, a45
	v_add_f64 v[38:39], v[38:39], -v[218:219]
	v_add_f64 v[36:37], v[40:41], v[36:37]
	v_add_f64 v[2:3], v[4:5], v[2:3]
	v_add_f64 v[4:5], v[184:185], v[220:221]
	;; [unrolled: 44-line block ×3, first 2 shown]
	v_mul_f64 v[40:41], v[38:39], s[22:23]
	v_add_f64 v[34:35], v[42:43], v[34:35]
	v_fma_f64 v[42:43], s[24:25], v[4:5], v[40:41]
	v_fma_f64 v[40:41], v[4:5], s[24:25], -v[40:41]
	v_add_f64 v[6:7], v[40:41], v[6:7]
	v_mul_f64 v[40:41], v[38:39], s[48:49]
	v_add_f64 v[8:9], v[42:43], v[8:9]
	v_fma_f64 v[42:43], s[20:21], v[4:5], v[40:41]
	v_fma_f64 v[40:41], v[4:5], s[20:21], -v[40:41]
	v_add_f64 v[10:11], v[40:41], v[10:11]
	v_mul_f64 v[40:41], v[38:39], s[16:17]
	v_add_f64 v[12:13], v[42:43], v[12:13]
	v_fma_f64 v[42:43], s[4:5], v[4:5], v[40:41]
	v_fma_f64 v[40:41], v[4:5], s[4:5], -v[40:41]
	v_add_f64 v[14:15], v[40:41], v[14:15]
	v_mul_f64 v[40:41], v[38:39], s[30:31]
	v_add_f64 v[16:17], v[42:43], v[16:17]
	v_fma_f64 v[42:43], s[34:35], v[4:5], v[40:41]
	v_fma_f64 v[40:41], v[4:5], s[34:35], -v[40:41]
	v_add_f64 v[18:19], v[40:41], v[18:19]
	v_mul_f64 v[40:41], v[38:39], s[52:53]
	v_add_f64 v[20:21], v[42:43], v[20:21]
	v_fma_f64 v[42:43], s[14:15], v[4:5], v[40:41]
	v_fma_f64 v[40:41], v[4:5], s[14:15], -v[40:41]
	v_add_f64 v[22:23], v[40:41], v[22:23]
	v_mul_f64 v[40:41], v[38:39], s[26:27]
	v_add_f64 v[24:25], v[42:43], v[24:25]
	v_fma_f64 v[42:43], s[6:7], v[4:5], v[40:41]
	v_fma_f64 v[40:41], v[4:5], s[6:7], -v[40:41]
	v_add_f64 v[26:27], v[40:41], v[26:27]
	v_mul_f64 v[40:41], v[38:39], s[36:37]
	v_add_f64 v[28:29], v[42:43], v[28:29]
	v_fma_f64 v[42:43], s[38:39], v[4:5], v[40:41]
	v_fma_f64 v[40:41], v[4:5], s[38:39], -v[40:41]
	v_mul_f64 v[38:39], v[38:39], s[42:43]
	v_add_f64 v[30:31], v[40:41], v[30:31]
	v_fma_f64 v[40:41], s[10:11], v[4:5], v[38:39]
	v_fma_f64 v[4:5], v[4:5], s[10:11], -v[38:39]
	v_add_f64 v[38:39], v[152:153], -v[202:203]
	v_add_f64 v[36:37], v[40:41], v[36:37]
	v_add_f64 v[2:3], v[4:5], v[2:3]
	v_add_f64 v[4:5], v[156:157], v[204:205]
	v_mul_f64 v[40:41], v[38:39], s[30:31]
	v_add_f64 v[34:35], v[42:43], v[34:35]
	v_fma_f64 v[42:43], s[34:35], v[4:5], v[40:41]
	v_fma_f64 v[40:41], v[4:5], s[34:35], -v[40:41]
	v_add_f64 v[6:7], v[40:41], v[6:7]
	v_mul_f64 v[40:41], v[38:39], s[42:43]
	v_add_f64 v[8:9], v[42:43], v[8:9]
	v_fma_f64 v[42:43], s[10:11], v[4:5], v[40:41]
	v_fma_f64 v[40:41], v[4:5], s[10:11], -v[40:41]
	v_add_f64 v[10:11], v[40:41], v[10:11]
	;; [unrolled: 5-line block ×6, first 2 shown]
	v_mul_f64 v[40:41], v[38:39], s[46:47]
	v_add_f64 v[28:29], v[42:43], v[28:29]
	v_fma_f64 v[42:43], s[6:7], v[4:5], v[40:41]
	v_fma_f64 v[40:41], v[4:5], s[6:7], -v[40:41]
	v_mul_f64 v[38:39], v[38:39], s[18:19]
	v_add_f64 v[30:31], v[40:41], v[30:31]
	v_fma_f64 v[40:41], s[20:21], v[4:5], v[38:39]
	v_fma_f64 v[4:5], v[4:5], s[20:21], -v[38:39]
	v_add_f64 v[38:39], v[114:115], -v[138:139]
	v_add_f64 v[36:37], v[40:41], v[36:37]
	v_add_f64 v[2:3], v[4:5], v[2:3]
	;; [unrolled: 1-line block ×3, first 2 shown]
	v_mul_f64 v[40:41], v[38:39], s[36:37]
	v_add_f64 v[34:35], v[42:43], v[34:35]
	v_fma_f64 v[42:43], s[38:39], v[4:5], v[40:41]
	v_add_f64 v[140:141], v[42:43], v[8:9]
	v_fma_f64 v[8:9], v[4:5], s[38:39], -v[40:41]
	v_add_f64 v[138:139], v[8:9], v[6:7]
	v_mul_f64 v[6:7], v[38:39], s[44:45]
	v_fma_f64 v[8:9], s[4:5], v[4:5], v[6:7]
	v_fma_f64 v[6:7], v[4:5], s[4:5], -v[6:7]
	v_add_f64 v[144:145], v[6:7], v[10:11]
	v_mul_f64 v[6:7], v[38:39], s[30:31]
	v_add_f64 v[146:147], v[8:9], v[12:13]
	v_fma_f64 v[8:9], s[34:35], v[4:5], v[6:7]
	v_fma_f64 v[6:7], v[4:5], s[34:35], -v[6:7]
	v_add_f64 v[156:157], v[6:7], v[14:15]
	v_mul_f64 v[6:7], v[38:39], s[46:47]
	v_add_f64 v[160:161], v[8:9], v[16:17]
	;; [unrolled: 5-line block ×6, first 2 shown]
	v_fma_f64 v[8:9], s[14:15], v[4:5], v[6:7]
	v_fma_f64 v[4:5], v[4:5], s[14:15], -v[6:7]
	v_add_f64 v[196:197], v[4:5], v[2:3]
	v_add_f64 v[2:3], v[112:113], v[180:181]
	;; [unrolled: 1-line block ×14, first 2 shown]
	v_accvgpr_read_b32 v4, a10
	v_add_f64 v[2:3], v[2:3], v[206:207]
	v_accvgpr_read_b32 v5, a11
	v_accvgpr_read_b32 v39, a19
	v_add_f64 v[2:3], v[2:3], v[54:55]
	v_add_f64 v[4:5], v[4:5], -v[44:45]
	v_accvgpr_read_b32 v38, a18
	v_add_f64 v[198:199], v[2:3], v[46:47]
	v_add_f64 v[2:3], v[180:181], v[46:47]
	v_mul_f64 v[6:7], v[4:5], s[16:17]
	v_mul_f64 v[10:11], v[4:5], s[26:27]
	;; [unrolled: 1-line block ×8, first 2 shown]
	v_add_f64 v[38:39], v[38:39], -v[52:53]
	v_add_f64 v[194:195], v[8:9], v[36:37]
	v_fma_f64 v[8:9], s[4:5], v[2:3], v[6:7]
	v_fma_f64 v[6:7], v[2:3], s[4:5], -v[6:7]
	v_fma_f64 v[12:13], s[6:7], v[2:3], v[10:11]
	v_fma_f64 v[10:11], v[2:3], s[6:7], -v[10:11]
	;; [unrolled: 2-line block ×8, first 2 shown]
	v_add_f64 v[4:5], v[182:183], v[54:55]
	v_mul_f64 v[40:41], v[38:39], s[26:27]
	v_add_f64 v[6:7], v[112:113], v[6:7]
	v_fma_f64 v[42:43], s[6:7], v[4:5], v[40:41]
	v_fma_f64 v[40:41], v[4:5], s[6:7], -v[40:41]
	v_add_f64 v[8:9], v[112:113], v[8:9]
	v_add_f64 v[6:7], v[40:41], v[6:7]
	v_mul_f64 v[40:41], v[38:39], s[28:29]
	v_add_f64 v[10:11], v[112:113], v[10:11]
	v_add_f64 v[8:9], v[42:43], v[8:9]
	v_fma_f64 v[42:43], s[14:15], v[4:5], v[40:41]
	v_fma_f64 v[40:41], v[4:5], s[14:15], -v[40:41]
	v_add_f64 v[12:13], v[112:113], v[12:13]
	v_add_f64 v[10:11], v[40:41], v[10:11]
	v_mul_f64 v[40:41], v[38:39], s[22:23]
	v_add_f64 v[14:15], v[112:113], v[14:15]
	;; [unrolled: 7-line block ×6, first 2 shown]
	v_add_f64 v[28:29], v[42:43], v[28:29]
	v_fma_f64 v[42:43], s[10:11], v[4:5], v[40:41]
	v_fma_f64 v[40:41], v[4:5], s[10:11], -v[40:41]
	v_mul_f64 v[38:39], v[38:39], s[44:45]
	v_add_f64 v[30:31], v[40:41], v[30:31]
	v_fma_f64 v[40:41], s[4:5], v[4:5], v[38:39]
	v_fma_f64 v[4:5], v[4:5], s[4:5], -v[38:39]
	v_accvgpr_read_b32 v39, a15
	v_accvgpr_read_b32 v38, a14
	v_add_f64 v[36:37], v[112:113], v[36:37]
	v_add_f64 v[2:3], v[112:113], v[2:3]
	v_add_f64 v[38:39], v[38:39], -v[56:57]
	v_add_f64 v[34:35], v[112:113], v[34:35]
	v_add_f64 v[36:37], v[40:41], v[36:37]
	;; [unrolled: 1-line block ×4, first 2 shown]
	v_mul_f64 v[40:41], v[38:39], s[40:41]
	v_add_f64 v[34:35], v[42:43], v[34:35]
	v_fma_f64 v[42:43], s[10:11], v[4:5], v[40:41]
	v_fma_f64 v[40:41], v[4:5], s[10:11], -v[40:41]
	v_add_f64 v[6:7], v[40:41], v[6:7]
	v_mul_f64 v[40:41], v[38:39], s[22:23]
	v_add_f64 v[8:9], v[42:43], v[8:9]
	v_fma_f64 v[42:43], s[24:25], v[4:5], v[40:41]
	v_fma_f64 v[40:41], v[4:5], s[24:25], -v[40:41]
	v_add_f64 v[10:11], v[40:41], v[10:11]
	v_mul_f64 v[40:41], v[38:39], s[56:57]
	v_add_f64 v[12:13], v[42:43], v[12:13]
	v_fma_f64 v[42:43], s[38:39], v[4:5], v[40:41]
	v_fma_f64 v[40:41], v[4:5], s[38:39], -v[40:41]
	v_add_f64 v[14:15], v[40:41], v[14:15]
	v_mul_f64 v[40:41], v[38:39], s[48:49]
	v_add_f64 v[16:17], v[42:43], v[16:17]
	v_fma_f64 v[42:43], s[20:21], v[4:5], v[40:41]
	v_fma_f64 v[40:41], v[4:5], s[20:21], -v[40:41]
	v_add_f64 v[18:19], v[40:41], v[18:19]
	v_mul_f64 v[40:41], v[38:39], s[46:47]
	v_add_f64 v[20:21], v[42:43], v[20:21]
	v_fma_f64 v[42:43], s[6:7], v[4:5], v[40:41]
	v_fma_f64 v[40:41], v[4:5], s[6:7], -v[40:41]
	v_add_f64 v[22:23], v[40:41], v[22:23]
	v_mul_f64 v[40:41], v[38:39], s[16:17]
	v_add_f64 v[24:25], v[42:43], v[24:25]
	v_fma_f64 v[42:43], s[4:5], v[4:5], v[40:41]
	v_fma_f64 v[40:41], v[4:5], s[4:5], -v[40:41]
	v_add_f64 v[26:27], v[40:41], v[26:27]
	v_mul_f64 v[40:41], v[38:39], s[28:29]
	v_add_f64 v[28:29], v[42:43], v[28:29]
	v_fma_f64 v[42:43], s[14:15], v[4:5], v[40:41]
	v_fma_f64 v[40:41], v[4:5], s[14:15], -v[40:41]
	v_mul_f64 v[38:39], v[38:39], s[30:31]
	v_add_f64 v[30:31], v[40:41], v[30:31]
	v_fma_f64 v[40:41], s[34:35], v[4:5], v[38:39]
	v_fma_f64 v[4:5], v[4:5], s[34:35], -v[38:39]
	v_accvgpr_read_b32 v39, a13
	v_accvgpr_read_b32 v38, a12
	v_add_f64 v[38:39], v[38:39], -v[134:135]
	v_add_f64 v[36:37], v[40:41], v[36:37]
	v_add_f64 v[2:3], v[4:5], v[2:3]
	v_add_f64 v[4:5], v[164:165], v[136:137]
	v_mul_f64 v[40:41], v[38:39], s[28:29]
	v_add_f64 v[34:35], v[42:43], v[34:35]
	v_fma_f64 v[42:43], s[14:15], v[4:5], v[40:41]
	v_fma_f64 v[40:41], v[4:5], s[14:15], -v[40:41]
	v_add_f64 v[6:7], v[40:41], v[6:7]
	v_mul_f64 v[40:41], v[38:39], s[36:37]
	v_add_f64 v[8:9], v[42:43], v[8:9]
	v_fma_f64 v[42:43], s[38:39], v[4:5], v[40:41]
	v_fma_f64 v[40:41], v[4:5], s[38:39], -v[40:41]
	v_add_f64 v[10:11], v[40:41], v[10:11]
	v_mul_f64 v[40:41], v[38:39], s[48:49]
	v_add_f64 v[12:13], v[42:43], v[12:13]
	v_fma_f64 v[42:43], s[20:21], v[4:5], v[40:41]
	v_fma_f64 v[40:41], v[4:5], s[20:21], -v[40:41]
	v_add_f64 v[14:15], v[40:41], v[14:15]
	v_mul_f64 v[40:41], v[38:39], s[44:45]
	v_add_f64 v[16:17], v[42:43], v[16:17]
	v_fma_f64 v[42:43], s[4:5], v[4:5], v[40:41]
	v_fma_f64 v[40:41], v[4:5], s[4:5], -v[40:41]
	v_add_f64 v[18:19], v[40:41], v[18:19]
	v_mul_f64 v[40:41], v[38:39], s[40:41]
	v_add_f64 v[20:21], v[42:43], v[20:21]
	v_fma_f64 v[42:43], s[10:11], v[4:5], v[40:41]
	v_fma_f64 v[40:41], v[4:5], s[10:11], -v[40:41]
	v_add_f64 v[22:23], v[40:41], v[22:23]
	v_mul_f64 v[40:41], v[38:39], s[30:31]
	v_add_f64 v[24:25], v[42:43], v[24:25]
	v_fma_f64 v[42:43], s[34:35], v[4:5], v[40:41]
	v_fma_f64 v[40:41], v[4:5], s[34:35], -v[40:41]
	v_add_f64 v[26:27], v[40:41], v[26:27]
	v_mul_f64 v[40:41], v[38:39], s[54:55]
	v_add_f64 v[28:29], v[42:43], v[28:29]
	v_fma_f64 v[42:43], s[24:25], v[4:5], v[40:41]
	v_fma_f64 v[40:41], v[4:5], s[24:25], -v[40:41]
	v_mul_f64 v[38:39], v[38:39], s[46:47]
	v_add_f64 v[30:31], v[40:41], v[30:31]
	v_fma_f64 v[40:41], s[6:7], v[4:5], v[38:39]
	v_fma_f64 v[4:5], v[4:5], s[6:7], -v[38:39]
	v_accvgpr_read_b32 v39, a9
	v_accvgpr_read_b32 v38, a8
	v_add_f64 v[38:39], v[38:39], -v[64:65]
	v_add_f64 v[36:37], v[40:41], v[36:37]
	v_add_f64 v[2:3], v[4:5], v[2:3]
	v_add_f64 v[4:5], v[158:159], v[66:67]
	;; [unrolled: 44-line block ×3, first 2 shown]
	v_mul_f64 v[40:41], v[38:39], s[22:23]
	v_add_f64 v[34:35], v[42:43], v[34:35]
	v_fma_f64 v[42:43], s[24:25], v[4:5], v[40:41]
	v_fma_f64 v[40:41], v[4:5], s[24:25], -v[40:41]
	v_add_f64 v[6:7], v[40:41], v[6:7]
	v_mul_f64 v[40:41], v[38:39], s[48:49]
	v_add_f64 v[8:9], v[42:43], v[8:9]
	v_fma_f64 v[42:43], s[20:21], v[4:5], v[40:41]
	v_fma_f64 v[40:41], v[4:5], s[20:21], -v[40:41]
	v_add_f64 v[10:11], v[40:41], v[10:11]
	;; [unrolled: 5-line block ×6, first 2 shown]
	v_mul_f64 v[40:41], v[38:39], s[36:37]
	v_add_f64 v[28:29], v[42:43], v[28:29]
	v_fma_f64 v[42:43], s[38:39], v[4:5], v[40:41]
	v_fma_f64 v[40:41], v[4:5], s[38:39], -v[40:41]
	v_mul_f64 v[38:39], v[38:39], s[42:43]
	v_add_f64 v[30:31], v[40:41], v[30:31]
	v_fma_f64 v[40:41], s[10:11], v[4:5], v[38:39]
	v_fma_f64 v[4:5], v[4:5], s[10:11], -v[38:39]
	v_add_f64 v[38:39], v[166:167], -v[76:77]
	v_add_f64 v[36:37], v[40:41], v[36:37]
	v_add_f64 v[2:3], v[4:5], v[2:3]
	;; [unrolled: 1-line block ×3, first 2 shown]
	v_mul_f64 v[40:41], v[38:39], s[30:31]
	v_add_f64 v[34:35], v[42:43], v[34:35]
	v_fma_f64 v[42:43], s[34:35], v[4:5], v[40:41]
	v_fma_f64 v[40:41], v[4:5], s[34:35], -v[40:41]
	v_add_f64 v[6:7], v[40:41], v[6:7]
	v_mul_f64 v[40:41], v[38:39], s[42:43]
	v_add_f64 v[8:9], v[42:43], v[8:9]
	v_fma_f64 v[42:43], s[10:11], v[4:5], v[40:41]
	v_fma_f64 v[40:41], v[4:5], s[10:11], -v[40:41]
	v_add_f64 v[10:11], v[40:41], v[10:11]
	v_mul_f64 v[40:41], v[38:39], s[28:29]
	v_add_f64 v[12:13], v[42:43], v[12:13]
	v_fma_f64 v[42:43], s[14:15], v[4:5], v[40:41]
	v_fma_f64 v[40:41], v[4:5], s[14:15], -v[40:41]
	v_add_f64 v[14:15], v[40:41], v[14:15]
	v_mul_f64 v[40:41], v[38:39], s[54:55]
	v_add_f64 v[16:17], v[42:43], v[16:17]
	v_fma_f64 v[42:43], s[24:25], v[4:5], v[40:41]
	v_fma_f64 v[40:41], v[4:5], s[24:25], -v[40:41]
	v_add_f64 v[18:19], v[40:41], v[18:19]
	v_mul_f64 v[40:41], v[38:39], s[16:17]
	v_add_f64 v[20:21], v[42:43], v[20:21]
	v_fma_f64 v[42:43], s[4:5], v[4:5], v[40:41]
	v_fma_f64 v[40:41], v[4:5], s[4:5], -v[40:41]
	v_add_f64 v[22:23], v[40:41], v[22:23]
	v_mul_f64 v[40:41], v[38:39], s[36:37]
	v_add_f64 v[24:25], v[42:43], v[24:25]
	v_fma_f64 v[42:43], s[38:39], v[4:5], v[40:41]
	v_fma_f64 v[40:41], v[4:5], s[38:39], -v[40:41]
	v_add_f64 v[26:27], v[40:41], v[26:27]
	v_mul_f64 v[40:41], v[38:39], s[46:47]
	v_add_f64 v[28:29], v[42:43], v[28:29]
	v_fma_f64 v[42:43], s[6:7], v[4:5], v[40:41]
	v_fma_f64 v[40:41], v[4:5], s[6:7], -v[40:41]
	v_mul_f64 v[38:39], v[38:39], s[18:19]
	v_add_f64 v[30:31], v[40:41], v[30:31]
	v_fma_f64 v[40:41], s[20:21], v[4:5], v[38:39]
	v_fma_f64 v[4:5], v[4:5], s[20:21], -v[38:39]
	v_add_f64 v[38:39], v[154:155], -v[84:85]
	v_add_f64 v[36:37], v[40:41], v[36:37]
	v_add_f64 v[2:3], v[4:5], v[2:3]
	v_add_f64 v[4:5], v[110:111], v[86:87]
	v_mul_f64 v[40:41], v[38:39], s[36:37]
	v_add_f64 v[34:35], v[42:43], v[34:35]
	v_fma_f64 v[42:43], s[38:39], v[4:5], v[40:41]
	v_add_f64 v[64:65], v[42:43], v[8:9]
	v_fma_f64 v[8:9], v[4:5], s[38:39], -v[40:41]
	v_add_f64 v[40:41], v[8:9], v[6:7]
	v_mul_f64 v[6:7], v[38:39], s[44:45]
	v_fma_f64 v[8:9], s[4:5], v[4:5], v[6:7]
	v_fma_f64 v[6:7], v[4:5], s[4:5], -v[6:7]
	v_add_f64 v[76:77], v[6:7], v[10:11]
	v_mul_f64 v[6:7], v[38:39], s[30:31]
	v_add_f64 v[74:75], v[8:9], v[12:13]
	v_fma_f64 v[8:9], s[34:35], v[4:5], v[6:7]
	v_fma_f64 v[6:7], v[4:5], s[34:35], -v[6:7]
	v_add_f64 v[98:99], v[6:7], v[14:15]
	v_mul_f64 v[6:7], v[38:39], s[46:47]
	v_add_f64 v[84:85], v[8:9], v[16:17]
	;; [unrolled: 5-line block ×5, first 2 shown]
	v_fma_f64 v[8:9], s[20:21], v[4:5], v[6:7]
	v_fma_f64 v[6:7], v[4:5], s[20:21], -v[6:7]
	v_accvgpr_read_b32 v143, a46
	v_add_f64 v[30:31], v[6:7], v[30:31]
	v_mul_f64 v[6:7], v[38:39], s[52:53]
	v_lshlrev_b32_e32 v51, 3, v143
	v_add_f64 v[34:35], v[8:9], v[34:35]
	v_fma_f64 v[8:9], s[14:15], v[4:5], v[6:7]
	v_fma_f64 v[4:5], v[4:5], s[14:15], -v[6:7]
	v_add_u32_e32 v50, 0x800, v233
	v_add_u32_e32 v18, 0x400, v233
	v_lshlrev_b32_e32 v42, 3, v249
	v_add3_u32 v137, 0, v51, v232
	v_accvgpr_read_b32 v51, a3
	v_add_f64 v[36:37], v[8:9], v[36:37]
	v_add_f64 v[38:39], v[4:5], v[2:3]
	s_waitcnt lgkmcnt(0)
	; wave barrier
	s_waitcnt lgkmcnt(0)
	ds_read2_b64 v[10:13], v233 offset0:119 offset1:136
	ds_read2_b64 v[2:5], v233 offset0:221 offset1:238
	;; [unrolled: 1-line block ×6, first 2 shown]
	v_add3_u32 v136, 0, v42, v232
	ds_read2_b64 v[46:49], v233 offset0:153 offset1:170
	ds_read2_b64 v[42:45], v50 offset0:135 offset1:152
	ds_read_b64 v[150:151], v51
	v_accvgpr_read_b32 v51, a6
	v_accvgpr_read_b32 v162, a47
	ds_read_b64 v[152:153], v51
	ds_read_b64 v[154:155], v136
	;; [unrolled: 1-line block ×3, first 2 shown]
	ds_read2_b64 v[70:73], v50 offset0:33 offset1:50
	v_lshlrev_b32_e32 v51, 3, v162
	v_add_u32_e32 v54, 0x1000, v233
	v_add3_u32 v142, 0, v51, v232
	ds_read2_b64 v[78:81], v54 offset0:15 offset1:32
	ds_read_b64 v[126:127], v142
	ds_read2_b64 v[90:93], v233 offset0:187 offset1:204
	ds_read2_b64 v[86:89], v50 offset0:169 offset1:186
	;; [unrolled: 1-line block ×5, first 2 shown]
	s_waitcnt lgkmcnt(0)
	; wave barrier
	s_waitcnt lgkmcnt(0)
	ds_write2_b64 v61, v[234:235], v[140:141] offset1:7
	ds_write2_b64 v61, v[146:147], v[160:161] offset0:14 offset1:21
	ds_write2_b64 v61, v[176:177], v[184:185] offset0:28 offset1:35
	;; [unrolled: 1-line block ×7, first 2 shown]
	ds_write_b64 v61, v[138:139] offset:896
	ds_write2_b64 v208, v[198:199], v[64:65] offset1:7
	ds_write2_b64 v208, v[74:75], v[84:85] offset0:14 offset1:21
	ds_write2_b64 v208, v[102:103], v[108:109] offset0:28 offset1:35
	;; [unrolled: 1-line block ×7, first 2 shown]
	ds_write_b64 v208, v[40:41] offset:896
	s_and_saveexec_b64 s[4:5], s[0:1]
	s_cbranch_execz .LBB0_20
; %bb.19:
	v_add_f64 v[26:27], v[0:1], v[210:211]
	v_add_f64 v[26:27], v[26:27], v[118:119]
	;; [unrolled: 1-line block ×13, first 2 shown]
	v_accvgpr_read_b32 v28, a70
	v_accvgpr_read_b32 v30, a74
	v_add_f64 v[26:27], v[26:27], v[132:133]
	v_accvgpr_read_b32 v29, a71
	v_accvgpr_read_b32 v31, a75
	s_mov_b32 s42, 0x7c9e640b
	v_add_f64 v[26:27], v[26:27], v[148:149]
	v_add_f64 v[28:29], v[28:29], -v[30:31]
	s_mov_b32 s0, 0x370991
	s_mov_b32 s43, 0xbfeca52d
	v_add_f64 v[84:85], v[26:27], v[216:217]
	v_add_f64 v[26:27], v[210:211], v[216:217]
	v_mul_f64 v[30:31], v[28:29], s[16:17]
	s_mov_b32 s1, 0x3fedd6d0
	v_mul_f64 v[36:37], v[28:29], s[26:27]
	v_mul_f64 v[40:41], v[28:29], s[42:43]
	;; [unrolled: 1-line block ×7, first 2 shown]
	v_fma_f64 v[34:35], s[0:1], v[26:27], v[30:31]
	v_fma_f64 v[30:31], v[26:27], s[0:1], -v[30:31]
	v_fma_f64 v[38:39], s[6:7], v[26:27], v[36:37]
	v_fma_f64 v[36:37], v[26:27], s[6:7], -v[36:37]
	;; [unrolled: 2-line block ×8, first 2 shown]
	v_accvgpr_read_b32 v28, a32
	v_accvgpr_read_b32 v115, a69
	;; [unrolled: 1-line block ×4, first 2 shown]
	v_add_f64 v[28:29], v[28:29], -v[114:115]
	v_add_f64 v[34:35], v[0:1], v[34:35]
	v_add_f64 v[30:31], v[0:1], v[30:31]
	;; [unrolled: 1-line block ×17, first 2 shown]
	v_mul_f64 v[114:115], v[28:29], s[26:27]
	v_fma_f64 v[116:117], s[6:7], v[26:27], v[114:115]
	v_fma_f64 v[114:115], v[26:27], s[6:7], -v[114:115]
	v_add_f64 v[30:31], v[114:115], v[30:31]
	v_mul_f64 v[114:115], v[28:29], s[28:29]
	v_add_f64 v[34:35], v[116:117], v[34:35]
	v_fma_f64 v[116:117], s[14:15], v[26:27], v[114:115]
	v_fma_f64 v[114:115], v[26:27], s[14:15], -v[114:115]
	v_add_f64 v[36:37], v[114:115], v[36:37]
	v_mul_f64 v[114:115], v[28:29], s[22:23]
	v_add_f64 v[38:39], v[116:117], v[38:39]
	;; [unrolled: 5-line block ×3, first 2 shown]
	v_fma_f64 v[116:117], s[38:39], v[26:27], v[114:115]
	v_fma_f64 v[114:115], v[26:27], s[38:39], -v[114:115]
	s_mov_b32 s50, s30
	v_add_f64 v[64:65], v[114:115], v[64:65]
	v_mul_f64 v[114:115], v[28:29], s[50:51]
	v_add_f64 v[74:75], v[116:117], v[74:75]
	v_fma_f64 v[116:117], s[34:35], v[26:27], v[114:115]
	v_fma_f64 v[114:115], v[26:27], s[34:35], -v[114:115]
	s_mov_b32 s48, s18
	v_add_f64 v[76:77], v[114:115], v[76:77]
	v_mul_f64 v[114:115], v[28:29], s[48:49]
	v_add_f64 v[98:99], v[116:117], v[98:99]
	v_fma_f64 v[116:117], s[20:21], v[26:27], v[114:115]
	v_fma_f64 v[114:115], v[26:27], s[20:21], -v[114:115]
	s_mov_b32 s41, 0x3feca52d
	s_mov_b32 s40, s42
	v_add_f64 v[102:103], v[114:115], v[102:103]
	v_mul_f64 v[114:115], v[28:29], s[40:41]
	s_mov_b32 s44, s16
	v_add_f64 v[106:107], v[116:117], v[106:107]
	v_fma_f64 v[116:117], s[10:11], v[26:27], v[114:115]
	v_fma_f64 v[114:115], v[26:27], s[10:11], -v[114:115]
	v_mul_f64 v[28:29], v[28:29], s[44:45]
	v_add_f64 v[108:109], v[114:115], v[108:109]
	v_fma_f64 v[114:115], s[0:1], v[26:27], v[28:29]
	v_fma_f64 v[26:27], v[26:27], s[0:1], -v[28:29]
	v_add_f64 v[0:1], v[26:27], v[0:1]
	v_add_f64 v[26:27], v[96:97], v[132:133]
	v_accvgpr_read_b32 v29, a23
	v_accvgpr_read_b32 v97, a67
	;; [unrolled: 1-line block ×4, first 2 shown]
	v_add_f64 v[28:29], v[28:29], -v[96:97]
	v_mul_f64 v[96:97], v[28:29], s[42:43]
	v_add_f64 v[112:113], v[114:115], v[112:113]
	v_fma_f64 v[114:115], s[10:11], v[26:27], v[96:97]
	v_fma_f64 v[96:97], v[26:27], s[10:11], -v[96:97]
	v_add_f64 v[30:31], v[96:97], v[30:31]
	v_mul_f64 v[96:97], v[28:29], s[22:23]
	v_add_f64 v[34:35], v[114:115], v[34:35]
	v_fma_f64 v[114:115], s[24:25], v[26:27], v[96:97]
	v_fma_f64 v[96:97], v[26:27], s[24:25], -v[96:97]
	s_mov_b32 s47, 0x3fc7851a
	s_mov_b32 s46, s36
	v_add_f64 v[36:37], v[96:97], v[36:37]
	v_mul_f64 v[96:97], v[28:29], s[46:47]
	v_add_f64 v[38:39], v[114:115], v[38:39]
	v_fma_f64 v[114:115], s[38:39], v[26:27], v[96:97]
	v_fma_f64 v[96:97], v[26:27], s[38:39], -v[96:97]
	v_add_f64 v[40:41], v[96:97], v[40:41]
	v_mul_f64 v[96:97], v[28:29], s[48:49]
	v_add_f64 v[60:61], v[114:115], v[60:61]
	v_fma_f64 v[114:115], s[20:21], v[26:27], v[96:97]
	v_fma_f64 v[96:97], v[26:27], s[20:21], -v[96:97]
	s_mov_b32 s47, 0x3fe58eea
	s_mov_b32 s46, s26
	v_add_f64 v[64:65], v[96:97], v[64:65]
	v_mul_f64 v[96:97], v[28:29], s[46:47]
	v_add_f64 v[74:75], v[114:115], v[74:75]
	v_fma_f64 v[114:115], s[6:7], v[26:27], v[96:97]
	v_fma_f64 v[96:97], v[26:27], s[6:7], -v[96:97]
	v_add_f64 v[76:77], v[96:97], v[76:77]
	v_mul_f64 v[96:97], v[28:29], s[16:17]
	v_add_f64 v[98:99], v[114:115], v[98:99]
	v_fma_f64 v[114:115], s[0:1], v[26:27], v[96:97]
	v_fma_f64 v[96:97], v[26:27], s[0:1], -v[96:97]
	;; [unrolled: 5-line block ×3, first 2 shown]
	v_mul_f64 v[28:29], v[28:29], s[30:31]
	v_add_f64 v[102:103], v[102:103], v[108:109]
	v_fma_f64 v[108:109], s[34:35], v[26:27], v[28:29]
	v_fma_f64 v[26:27], v[26:27], s[34:35], -v[28:29]
	v_add_f64 v[0:1], v[26:27], v[0:1]
	v_add_f64 v[26:27], v[104:105], v[128:129]
	v_accvgpr_read_b32 v28, a28
	v_accvgpr_read_b32 v105, a51
	;; [unrolled: 1-line block ×4, first 2 shown]
	v_add_f64 v[28:29], v[28:29], -v[104:105]
	v_mul_f64 v[104:105], v[28:29], s[28:29]
	v_add_f64 v[108:109], v[108:109], v[112:113]
	v_fma_f64 v[112:113], s[14:15], v[26:27], v[104:105]
	v_fma_f64 v[104:105], v[26:27], s[14:15], -v[104:105]
	v_add_f64 v[30:31], v[104:105], v[30:31]
	v_mul_f64 v[104:105], v[28:29], s[36:37]
	v_add_f64 v[34:35], v[112:113], v[34:35]
	v_fma_f64 v[112:113], s[38:39], v[26:27], v[104:105]
	v_fma_f64 v[104:105], v[26:27], s[38:39], -v[104:105]
	v_add_f64 v[36:37], v[104:105], v[36:37]
	;; [unrolled: 5-line block ×5, first 2 shown]
	v_mul_f64 v[104:105], v[28:29], s[30:31]
	v_add_f64 v[98:99], v[112:113], v[98:99]
	v_fma_f64 v[112:113], s[34:35], v[26:27], v[104:105]
	v_fma_f64 v[104:105], v[26:27], s[34:35], -v[104:105]
	s_mov_b32 s53, 0x3fe9895b
	s_mov_b32 s52, s22
	v_add_f64 v[96:97], v[104:105], v[96:97]
	v_mul_f64 v[104:105], v[28:29], s[52:53]
	v_add_f64 v[106:107], v[112:113], v[106:107]
	v_fma_f64 v[112:113], s[24:25], v[26:27], v[104:105]
	v_fma_f64 v[104:105], v[26:27], s[24:25], -v[104:105]
	v_mul_f64 v[28:29], v[28:29], s[46:47]
	v_add_f64 v[102:103], v[104:105], v[102:103]
	v_fma_f64 v[104:105], s[6:7], v[26:27], v[28:29]
	v_fma_f64 v[26:27], v[26:27], s[6:7], -v[28:29]
	v_add_f64 v[0:1], v[26:27], v[0:1]
	v_add_f64 v[26:27], v[100:101], v[124:125]
	v_accvgpr_read_b32 v29, a25
	v_accvgpr_read_b32 v101, a41
	;; [unrolled: 1-line block ×4, first 2 shown]
	v_add_f64 v[28:29], v[28:29], -v[100:101]
	v_mul_f64 v[100:101], v[28:29], s[18:19]
	v_add_f64 v[104:105], v[104:105], v[108:109]
	v_fma_f64 v[108:109], s[20:21], v[26:27], v[100:101]
	v_fma_f64 v[100:101], v[26:27], s[20:21], -v[100:101]
	v_add_f64 v[30:31], v[100:101], v[30:31]
	v_mul_f64 v[100:101], v[28:29], s[50:51]
	v_add_f64 v[34:35], v[108:109], v[34:35]
	v_fma_f64 v[108:109], s[34:35], v[26:27], v[100:101]
	v_fma_f64 v[100:101], v[26:27], s[34:35], -v[100:101]
	v_add_f64 v[36:37], v[100:101], v[36:37]
	;; [unrolled: 5-line block ×4, first 2 shown]
	v_mul_f64 v[100:101], v[28:29], s[36:37]
	v_add_f64 v[74:75], v[108:109], v[74:75]
	v_fma_f64 v[108:109], s[38:39], v[26:27], v[100:101]
	v_fma_f64 v[100:101], v[26:27], s[38:39], -v[100:101]
	s_mov_b32 s43, 0x3fefdd0d
	s_mov_b32 s42, s28
	v_add_f64 v[76:77], v[100:101], v[76:77]
	v_mul_f64 v[100:101], v[28:29], s[42:43]
	v_add_f64 v[98:99], v[108:109], v[98:99]
	v_fma_f64 v[108:109], s[14:15], v[26:27], v[100:101]
	v_fma_f64 v[100:101], v[26:27], s[14:15], -v[100:101]
	v_add_f64 v[96:97], v[100:101], v[96:97]
	v_mul_f64 v[100:101], v[28:29], s[16:17]
	v_add_f64 v[106:107], v[108:109], v[106:107]
	v_fma_f64 v[108:109], s[0:1], v[26:27], v[100:101]
	v_fma_f64 v[100:101], v[26:27], s[0:1], -v[100:101]
	v_mul_f64 v[28:29], v[28:29], s[22:23]
	v_add_f64 v[100:101], v[100:101], v[102:103]
	v_fma_f64 v[102:103], s[24:25], v[26:27], v[28:29]
	v_fma_f64 v[26:27], v[26:27], s[24:25], -v[28:29]
	v_add_f64 v[0:1], v[26:27], v[0:1]
	v_add_f64 v[26:27], v[58:59], v[120:121]
	v_accvgpr_read_b32 v29, a21
	v_accvgpr_read_b32 v59, a39
	;; [unrolled: 1-line block ×4, first 2 shown]
	v_add_f64 v[28:29], v[28:29], -v[58:59]
	v_mul_f64 v[58:59], v[28:29], s[22:23]
	v_add_f64 v[102:103], v[102:103], v[104:105]
	v_fma_f64 v[104:105], s[24:25], v[26:27], v[58:59]
	v_fma_f64 v[58:59], v[26:27], s[24:25], -v[58:59]
	v_add_f64 v[30:31], v[58:59], v[30:31]
	v_mul_f64 v[58:59], v[28:29], s[48:49]
	v_add_f64 v[34:35], v[104:105], v[34:35]
	v_fma_f64 v[104:105], s[20:21], v[26:27], v[58:59]
	v_fma_f64 v[58:59], v[26:27], s[20:21], -v[58:59]
	v_add_f64 v[36:37], v[58:59], v[36:37]
	;; [unrolled: 5-line block ×6, first 2 shown]
	v_mul_f64 v[96:97], v[28:29], s[36:37]
	v_add_f64 v[104:105], v[104:105], v[106:107]
	v_fma_f64 v[106:107], s[38:39], v[26:27], v[96:97]
	v_fma_f64 v[96:97], v[26:27], s[38:39], -v[96:97]
	v_mul_f64 v[28:29], v[28:29], s[40:41]
	v_add_f64 v[96:97], v[96:97], v[100:101]
	v_fma_f64 v[100:101], s[10:11], v[26:27], v[28:29]
	v_fma_f64 v[26:27], v[26:27], s[10:11], -v[28:29]
	v_accvgpr_read_b32 v28, a34
	v_accvgpr_read_b32 v29, a35
	v_add_f64 v[28:29], v[172:173], -v[28:29]
	v_add_f64 v[0:1], v[26:27], v[0:1]
	v_add_f64 v[26:27], v[94:95], v[82:83]
	v_mul_f64 v[82:83], v[28:29], s[30:31]
	v_fma_f64 v[94:95], s[34:35], v[26:27], v[82:83]
	v_fma_f64 v[82:83], v[26:27], s[34:35], -v[82:83]
	v_add_f64 v[30:31], v[82:83], v[30:31]
	v_mul_f64 v[82:83], v[28:29], s[40:41]
	v_add_f64 v[34:35], v[94:95], v[34:35]
	v_fma_f64 v[94:95], s[10:11], v[26:27], v[82:83]
	v_fma_f64 v[82:83], v[26:27], s[10:11], -v[82:83]
	v_add_f64 v[36:37], v[82:83], v[36:37]
	v_mul_f64 v[82:83], v[28:29], s[28:29]
	v_add_f64 v[38:39], v[94:95], v[38:39]
	;; [unrolled: 5-line block ×6, first 2 shown]
	v_fma_f64 v[102:103], s[6:7], v[26:27], v[82:83]
	v_fma_f64 v[82:83], v[26:27], s[6:7], -v[82:83]
	v_mul_f64 v[28:29], v[28:29], s[18:19]
	v_add_f64 v[82:83], v[82:83], v[96:97]
	v_fma_f64 v[96:97], s[20:21], v[26:27], v[28:29]
	v_fma_f64 v[26:27], v[26:27], s[20:21], -v[28:29]
	v_add_f64 v[28:29], v[122:123], -v[170:171]
	v_add_f64 v[0:1], v[26:27], v[0:1]
	v_add_f64 v[26:27], v[32:33], v[62:63]
	v_mul_f64 v[32:33], v[28:29], s[36:37]
	v_fma_f64 v[62:63], s[38:39], v[26:27], v[32:33]
	v_fma_f64 v[32:33], v[26:27], s[38:39], -v[32:33]
	v_add_f64 v[30:31], v[32:33], v[30:31]
	v_mul_f64 v[32:33], v[28:29], s[44:45]
	v_add_f64 v[34:35], v[62:63], v[34:35]
	v_fma_f64 v[62:63], s[0:1], v[26:27], v[32:33]
	v_fma_f64 v[32:33], v[26:27], s[0:1], -v[32:33]
	v_add_f64 v[32:33], v[32:33], v[36:37]
	v_mul_f64 v[36:37], v[28:29], s[30:31]
	v_add_f64 v[38:39], v[62:63], v[38:39]
	;; [unrolled: 5-line block ×5, first 2 shown]
	v_fma_f64 v[94:95], s[10:11], v[26:27], v[64:65]
	v_fma_f64 v[64:65], v[26:27], s[10:11], -v[64:65]
	v_add_f64 v[98:99], v[98:99], v[104:105]
	v_add_f64 v[64:65], v[64:65], v[76:77]
	v_mul_f64 v[76:77], v[28:29], s[18:19]
	v_add_f64 v[110:111], v[116:117], v[110:111]
	v_add_f64 v[94:95], v[94:95], v[98:99]
	v_fma_f64 v[98:99], s[20:21], v[26:27], v[76:77]
	v_fma_f64 v[76:77], v[26:27], s[20:21], -v[76:77]
	v_mul_f64 v[28:29], v[28:29], s[42:43]
	v_add_f64 v[110:111], v[114:115], v[110:111]
	v_add_f64 v[76:77], v[76:77], v[82:83]
	v_fma_f64 v[82:83], s[14:15], v[26:27], v[28:29]
	v_fma_f64 v[26:27], v[26:27], s[14:15], -v[28:29]
	v_add_f64 v[110:111], v[112:113], v[110:111]
	v_add_f64 v[0:1], v[26:27], v[0:1]
	v_mov_b32_e32 v26, 3
	v_accvgpr_read_b32 v27, a7
	v_add_f64 v[108:109], v[108:109], v[110:111]
	v_lshlrev_b32_sdwa v26, v26, v27 dst_sel:DWORD dst_unused:UNUSED_PAD src0_sel:DWORD src1_sel:BYTE_0
	v_add_f64 v[106:107], v[106:107], v[108:109]
	v_add3_u32 v26, 0, v26, v232
	v_add_f64 v[102:103], v[102:103], v[106:107]
	v_add_u32_e32 v27, 0x800, v26
	v_add_f64 v[96:97], v[96:97], v[100:101]
	v_add_f64 v[98:99], v[98:99], v[102:103]
	ds_write2_b64 v27, v[84:85], v[34:35] offset0:220 offset1:227
	ds_write2_b64 v27, v[38:39], v[60:61] offset0:234 offset1:241
	;; [unrolled: 1-line block ×3, first 2 shown]
	v_add_u32_e32 v27, 0x1000, v26
	v_add_f64 v[82:83], v[82:83], v[96:97]
	ds_write2_b64 v27, v[94:95], v[98:99] offset0:6 offset1:13
	ds_write2_b64 v27, v[82:83], v[0:1] offset0:20 offset1:27
	;; [unrolled: 1-line block ×5, first 2 shown]
	ds_write_b64 v26, v[30:31] offset:4704
.LBB0_20:
	s_or_b64 exec, exec, s[4:5]
	s_waitcnt lgkmcnt(0)
	; wave barrier
	s_waitcnt lgkmcnt(0)
	s_mov_b64 s[0:1], exec
	s_and_b64 s[0:1], s[0:1], vcc
	v_accvgpr_read_b32 v182, a64
	s_mov_b64 exec, s[0:1]
	s_cbranch_execz .LBB0_22
; %bb.21:
	v_add_u32_e32 v158, 0x66, v248
	v_lshlrev_b32_e32 v156, 2, v158
	v_mov_b32_e32 v157, 0
	v_lshlrev_b64 v[0:1], 4, v[156:157]
	v_mov_b32_e32 v160, s9
	v_add_co_u32_e32 v0, vcc, s8, v0
	v_addc_co_u32_e32 v1, vcc, v160, v1, vcc
	global_load_dwordx4 v[26:29], v[0:1], off offset:1808
	global_load_dwordx4 v[30:33], v[0:1], off offset:1792
	global_load_dwordx4 v[34:37], v[0:1], off offset:1824
	global_load_dwordx4 v[38:41], v[0:1], off offset:1840
	v_add_u32_e32 v159, 0x55, v248
	v_lshlrev_b32_e32 v156, 2, v159
	v_lshlrev_b64 v[0:1], 4, v[156:157]
	v_add_co_u32_e32 v0, vcc, s8, v0
	v_add_u32_e32 v161, 0x800, v233
	v_add_u32_e32 v118, 0x1000, v233
	v_addc_co_u32_e32 v1, vcc, v160, v1, vcc
	ds_read2_b64 v[74:77], v233 offset0:221 offset1:238
	ds_read2_b64 v[58:61], v233 offset0:85 offset1:102
	;; [unrolled: 1-line block ×4, first 2 shown]
	global_load_dwordx4 v[98:101], v[0:1], off offset:1808
	global_load_dwordx4 v[120:123], v[0:1], off offset:1792
	ds_read2_b64 v[106:109], v118 offset0:49 offset1:66
	global_load_dwordx4 v[128:131], v[0:1], off offset:1840
	global_load_dwordx4 v[110:113], v[0:1], off offset:1824
	s_mov_b32 s4, 0x134454ff
	s_mov_b32 s5, 0xbfee6f0e
	;; [unrolled: 1-line block ×10, first 2 shown]
	v_lshlrev_b32_e32 v156, 2, v162
	s_waitcnt vmcnt(7)
	v_mul_f64 v[0:1], v[52:53], v[28:29]
	s_waitcnt vmcnt(6)
	v_mul_f64 v[94:95], v[2:3], v[32:33]
	s_waitcnt vmcnt(5)
	v_mul_f64 v[96:97], v[14:15], v[36:37]
	s_waitcnt vmcnt(4)
	v_mul_f64 v[102:103], v[56:57], v[40:41]
	s_waitcnt lgkmcnt(2)
	v_mul_f64 v[28:29], v[64:65], v[28:29]
	s_waitcnt lgkmcnt(1)
	v_mul_f64 v[36:37], v[82:83], v[36:37]
	v_fmac_f64_e32 v[94:95], v[74:75], v[30:31]
	s_waitcnt lgkmcnt(0)
	v_fmac_f64_e32 v[102:103], v[108:109], v[38:39]
	v_mul_f64 v[32:33], v[74:75], v[32:33]
	v_mul_f64 v[40:41], v[108:109], v[40:41]
	v_fma_f64 v[52:53], v[52:53], v[26:27], -v[28:29]
	v_fma_f64 v[14:15], v[14:15], v[34:35], -v[36:37]
	v_add_f64 v[28:29], v[94:95], v[102:103]
	v_fmac_f64_e32 v[0:1], v[64:65], v[26:27]
	v_fmac_f64_e32 v[96:97], v[82:83], v[34:35]
	v_fma_f64 v[64:65], v[2:3], v[30:31], -v[32:33]
	v_fma_f64 v[38:39], v[56:57], v[38:39], -v[40:41]
	v_add_f64 v[40:41], v[52:53], -v[14:15]
	v_fma_f64 v[32:33], -0.5, v[28:29], v[60:61]
	v_add_f64 v[2:3], v[0:1], -v[94:95]
	v_add_f64 v[26:27], v[96:97], -v[102:103]
	;; [unrolled: 1-line block ×5, first 2 shown]
	v_add_f64 v[56:57], v[0:1], v[96:97]
	v_add_f64 v[74:75], v[94:95], v[60:61]
	;; [unrolled: 1-line block ×3, first 2 shown]
	v_fma_f64 v[28:29], s[4:5], v[40:41], v[32:33]
	v_fmac_f64_e32 v[32:33], s[10:11], v[40:41]
	v_add_f64 v[108:109], v[0:1], -v[96:97]
	v_add_f64 v[26:27], v[2:3], v[26:27]
	v_add_f64 v[116:117], v[30:31], v[36:37]
	v_fma_f64 v[36:37], -0.5, v[56:57], v[60:61]
	v_add_f64 v[0:1], v[0:1], v[74:75]
	v_fma_f64 v[30:31], -0.5, v[114:115], v[68:69]
	v_fmac_f64_e32 v[28:29], s[0:1], v[34:35]
	v_fmac_f64_e32 v[32:33], s[14:15], v[34:35]
	v_add_f64 v[82:83], v[52:53], -v[64:65]
	v_add_f64 v[104:105], v[14:15], -v[38:39]
	v_fma_f64 v[2:3], s[10:11], v[34:35], v[36:37]
	v_fmac_f64_e32 v[36:37], s[4:5], v[34:35]
	v_add_f64 v[0:1], v[96:97], v[0:1]
	v_fmac_f64_e32 v[28:29], s[6:7], v[26:27]
	v_fmac_f64_e32 v[32:33], s[6:7], v[26:27]
	v_fma_f64 v[26:27], s[10:11], v[108:109], v[30:31]
	v_add_f64 v[60:61], v[94:95], -v[102:103]
	v_fmac_f64_e32 v[30:31], s[4:5], v[108:109]
	v_add_f64 v[56:57], v[82:83], v[104:105]
	v_fmac_f64_e32 v[2:3], s[0:1], v[40:41]
	v_fmac_f64_e32 v[36:37], s[14:15], v[40:41]
	v_add_f64 v[40:41], v[102:103], v[0:1]
	v_fmac_f64_e32 v[26:27], s[14:15], v[60:61]
	v_fmac_f64_e32 v[30:31], s[0:1], v[60:61]
	v_add_f64 v[0:1], v[64:65], -v[52:53]
	v_add_f64 v[34:35], v[38:39], -v[14:15]
	v_fmac_f64_e32 v[26:27], s[6:7], v[56:57]
	v_fmac_f64_e32 v[30:31], s[6:7], v[56:57]
	v_add_f64 v[56:57], v[0:1], v[34:35]
	v_add_f64 v[0:1], v[52:53], v[14:15]
	v_fma_f64 v[34:35], -0.5, v[0:1], v[68:69]
	v_fma_f64 v[0:1], s[4:5], v[60:61], v[34:35]
	v_fmac_f64_e32 v[34:35], s[10:11], v[60:61]
	v_fmac_f64_e32 v[0:1], s[14:15], v[108:109]
	;; [unrolled: 1-line block ×5, first 2 shown]
	v_add_f64 v[56:57], v[68:69], v[64:65]
	v_add_f64 v[52:53], v[52:53], v[56:57]
	;; [unrolled: 1-line block ×3, first 2 shown]
	v_lshlrev_b64 v[52:53], 4, v[156:157]
	v_add_co_u32_e32 v52, vcc, s8, v52
	v_addc_co_u32_e32 v53, vcc, v160, v53, vcc
	v_fmac_f64_e32 v[2:3], s[6:7], v[116:117]
	v_fmac_f64_e32 v[36:37], s[6:7], v[116:117]
	global_load_dwordx4 v[114:117], v[52:53], off offset:1808
	global_load_dwordx4 v[138:141], v[52:53], off offset:1792
	ds_read2_b64 v[102:105], v233 offset0:187 offset1:204
	ds_read2_b64 v[94:97], v161 offset0:169 offset1:186
	global_load_dwordx4 v[144:147], v[52:53], off offset:1840
	global_load_dwordx4 v[162:165], v[52:53], off offset:1824
	v_add_f64 v[38:39], v[14:15], v[38:39]
	s_waitcnt vmcnt(7)
	v_mul_f64 v[14:15], v[50:51], v[100:101]
	s_waitcnt vmcnt(6)
	v_mul_f64 v[74:75], v[92:93], v[122:123]
	;; [unrolled: 2-line block ×3, first 2 shown]
	v_mul_f64 v[108:109], v[54:55], v[130:131]
	v_fmac_f64_e32 v[14:15], v[62:63], v[98:99]
	s_waitcnt lgkmcnt(1)
	v_fmac_f64_e32 v[74:75], v[104:105], v[120:121]
	s_waitcnt lgkmcnt(0)
	v_fmac_f64_e32 v[82:83], v[96:97], v[110:111]
	v_fmac_f64_e32 v[108:109], v[106:107], v[128:129]
	v_add_f64 v[56:57], v[14:15], -v[74:75]
	v_add_f64 v[52:53], v[82:83], -v[108:109]
	v_add_f64 v[52:53], v[56:57], v[52:53]
	v_mul_f64 v[56:57], v[104:105], v[122:123]
	v_fma_f64 v[92:93], v[92:93], v[120:121], -v[56:57]
	v_mul_f64 v[56:57], v[106:107], v[130:131]
	v_fma_f64 v[120:121], v[54:55], v[128:129], -v[56:57]
	v_add_f64 v[56:57], v[74:75], v[108:109]
	v_fma_f64 v[60:61], -0.5, v[56:57], v[58:59]
	v_mul_f64 v[56:57], v[62:63], v[100:101]
	v_fma_f64 v[98:99], v[50:51], v[98:99], -v[56:57]
	v_mul_f64 v[50:51], v[96:97], v[112:113]
	v_fma_f64 v[88:89], v[88:89], v[110:111], -v[50:51]
	v_add_f64 v[50:51], v[98:99], -v[88:89]
	v_add_f64 v[54:55], v[92:93], -v[120:121]
	v_fma_f64 v[56:57], s[4:5], v[50:51], v[60:61]
	v_fmac_f64_e32 v[60:61], s[10:11], v[50:51]
	v_fmac_f64_e32 v[56:57], s[0:1], v[54:55]
	;; [unrolled: 1-line block ×5, first 2 shown]
	v_add_f64 v[52:53], v[74:75], -v[14:15]
	v_add_f64 v[62:63], v[108:109], -v[82:83]
	v_add_f64 v[62:63], v[52:53], v[62:63]
	v_add_f64 v[52:53], v[14:15], v[82:83]
	v_fma_f64 v[64:65], -0.5, v[52:53], v[58:59]
	v_fma_f64 v[52:53], s[10:11], v[54:55], v[64:65]
	v_fmac_f64_e32 v[64:65], s[4:5], v[54:55]
	v_fmac_f64_e32 v[52:53], s[0:1], v[50:51]
	;; [unrolled: 1-line block ×3, first 2 shown]
	v_add_f64 v[50:51], v[74:75], v[58:59]
	v_add_f64 v[50:51], v[14:15], v[50:51]
	;; [unrolled: 1-line block ×4, first 2 shown]
	v_add_f64 v[50:51], v[98:99], -v[92:93]
	v_add_f64 v[54:55], v[88:89], -v[120:121]
	v_add_f64 v[50:51], v[50:51], v[54:55]
	v_add_f64 v[54:55], v[92:93], v[120:121]
	v_add_f64 v[14:15], v[14:15], -v[82:83]
	v_fma_f64 v[58:59], -0.5, v[54:55], v[66:67]
	v_fma_f64 v[54:55], s[10:11], v[14:15], v[58:59]
	v_add_f64 v[74:75], v[74:75], -v[108:109]
	v_fmac_f64_e32 v[58:59], s[4:5], v[14:15]
	v_fmac_f64_e32 v[54:55], s[14:15], v[74:75]
	v_fmac_f64_e32 v[58:59], s[0:1], v[74:75]
	v_fmac_f64_e32 v[52:53], s[6:7], v[62:63]
	v_fmac_f64_e32 v[64:65], s[6:7], v[62:63]
	v_fmac_f64_e32 v[54:55], s[6:7], v[50:51]
	v_fmac_f64_e32 v[58:59], s[6:7], v[50:51]
	v_add_f64 v[50:51], v[92:93], -v[98:99]
	v_add_f64 v[62:63], v[120:121], -v[88:89]
	v_add_f64 v[82:83], v[50:51], v[62:63]
	v_add_f64 v[50:51], v[98:99], v[88:89]
	v_fma_f64 v[62:63], -0.5, v[50:51], v[66:67]
	v_fma_f64 v[50:51], s[4:5], v[74:75], v[62:63]
	v_fmac_f64_e32 v[62:63], s[10:11], v[74:75]
	v_lshlrev_b32_e32 v156, 2, v143
	v_fmac_f64_e32 v[50:51], s[14:15], v[14:15]
	v_fmac_f64_e32 v[62:63], s[0:1], v[14:15]
	v_add_f64 v[14:15], v[66:67], v[92:93]
	v_lshlrev_b64 v[66:67], 4, v[156:157]
	v_add_co_u32_e32 v74, vcc, s8, v66
	v_add_f64 v[14:15], v[98:99], v[14:15]
	ds_read2_b64 v[98:101], v161 offset0:33 offset1:50
	v_addc_co_u32_e32 v75, vcc, v160, v67, vcc
	ds_read2_b64 v[130:133], v118 offset0:15 offset1:32
	global_load_dwordx4 v[104:107], v[74:75], off offset:1808
	global_load_dwordx4 v[166:169], v[74:75], off offset:1792
	s_waitcnt vmcnt(4)
	v_mul_f64 v[108:109], v[90:91], v[140:141]
	global_load_dwordx4 v[170:173], v[74:75], off offset:1840
	global_load_dwordx4 v[110:113], v[74:75], off offset:1824
	v_mul_f64 v[74:75], v[102:103], v[140:141]
	v_fmac_f64_e32 v[108:109], v[102:103], v[138:139]
	v_fma_f64 v[102:103], v[90:91], v[138:139], -v[74:75]
	ds_read_b64 v[90:91], v142
	v_add_f64 v[14:15], v[14:15], v[88:89]
	v_add_f64 v[66:67], v[14:15], v[120:121]
	v_mul_f64 v[14:15], v[72:73], v[116:117]
	s_waitcnt vmcnt(4)
	v_mul_f64 v[118:119], v[86:87], v[164:165]
	v_mul_f64 v[120:121], v[80:81], v[146:147]
	s_waitcnt lgkmcnt(2)
	v_fmac_f64_e32 v[14:15], v[100:101], v[114:115]
	v_fmac_f64_e32 v[118:119], v[94:95], v[162:163]
	s_waitcnt lgkmcnt(1)
	v_fmac_f64_e32 v[120:121], v[132:133], v[144:145]
	v_mul_f64 v[74:75], v[132:133], v[146:147]
	v_fmac_f64_e32 v[50:51], s[6:7], v[82:83]
	v_fmac_f64_e32 v[62:63], s[6:7], v[82:83]
	v_add_f64 v[82:83], v[14:15], -v[108:109]
	v_add_f64 v[88:89], v[118:119], -v[120:121]
	v_fma_f64 v[122:123], v[80:81], v[144:145], -v[74:75]
	v_add_f64 v[74:75], v[108:109], v[120:121]
	v_add_f64 v[92:93], v[82:83], v[88:89]
	s_waitcnt lgkmcnt(0)
	v_fma_f64 v[88:89], -0.5, v[74:75], v[90:91]
	v_mul_f64 v[74:75], v[100:101], v[116:117]
	v_fma_f64 v[100:101], v[72:73], v[114:115], -v[74:75]
	v_mul_f64 v[72:73], v[94:95], v[164:165]
	v_fma_f64 v[94:95], v[86:87], v[162:163], -v[72:73]
	v_add_f64 v[72:73], v[100:101], -v[94:95]
	v_add_f64 v[80:81], v[102:103], -v[122:123]
	v_fma_f64 v[82:83], s[4:5], v[72:73], v[88:89]
	v_fmac_f64_e32 v[88:89], s[10:11], v[72:73]
	v_add_f64 v[74:75], v[108:109], -v[14:15]
	v_add_f64 v[86:87], v[120:121], -v[118:119]
	v_fmac_f64_e32 v[82:83], s[0:1], v[80:81]
	v_fmac_f64_e32 v[88:89], s[14:15], v[80:81]
	v_add_f64 v[86:87], v[74:75], v[86:87]
	v_add_f64 v[74:75], v[14:15], v[118:119]
	v_fmac_f64_e32 v[82:83], s[6:7], v[92:93]
	v_fmac_f64_e32 v[88:89], s[6:7], v[92:93]
	v_fma_f64 v[92:93], -0.5, v[74:75], v[90:91]
	v_fma_f64 v[74:75], s[10:11], v[80:81], v[92:93]
	v_fmac_f64_e32 v[92:93], s[4:5], v[80:81]
	v_fmac_f64_e32 v[74:75], s[0:1], v[72:73]
	v_fmac_f64_e32 v[92:93], s[14:15], v[72:73]
	v_add_f64 v[72:73], v[108:109], v[90:91]
	v_add_f64 v[72:73], v[14:15], v[72:73]
	;; [unrolled: 1-line block ×4, first 2 shown]
	v_add_f64 v[72:73], v[100:101], -v[102:103]
	v_add_f64 v[80:81], v[94:95], -v[122:123]
	v_add_f64 v[72:73], v[72:73], v[80:81]
	v_add_f64 v[80:81], v[102:103], v[122:123]
	v_fmac_f64_e32 v[74:75], s[6:7], v[86:87]
	v_fmac_f64_e32 v[92:93], s[6:7], v[86:87]
	v_add_f64 v[14:15], v[14:15], -v[118:119]
	v_fma_f64 v[86:87], -0.5, v[80:81], v[126:127]
	v_fma_f64 v[80:81], s[10:11], v[14:15], v[86:87]
	v_add_f64 v[108:109], v[108:109], -v[120:121]
	v_fmac_f64_e32 v[86:87], s[4:5], v[14:15]
	v_fmac_f64_e32 v[80:81], s[14:15], v[108:109]
	;; [unrolled: 1-line block ×5, first 2 shown]
	v_add_f64 v[72:73], v[102:103], -v[100:101]
	v_add_f64 v[90:91], v[122:123], -v[94:95]
	v_add_f64 v[114:115], v[72:73], v[90:91]
	v_add_f64 v[72:73], v[100:101], v[94:95]
	v_fma_f64 v[90:91], -0.5, v[72:73], v[126:127]
	v_fma_f64 v[72:73], s[4:5], v[108:109], v[90:91]
	v_fmac_f64_e32 v[90:91], s[10:11], v[108:109]
	v_fmac_f64_e32 v[72:73], s[14:15], v[14:15]
	;; [unrolled: 1-line block ×3, first 2 shown]
	v_add_f64 v[14:15], v[126:127], v[102:103]
	v_add_f64 v[14:15], v[100:101], v[14:15]
	;; [unrolled: 1-line block ×3, first 2 shown]
	v_lshlrev_b32_e32 v156, 2, v249
	v_add_f64 v[94:95], v[14:15], v[122:123]
	v_lshlrev_b64 v[14:15], 4, v[156:157]
	v_add_co_u32_e32 v14, vcc, s8, v14
	v_addc_co_u32_e32 v15, vcc, v160, v15, vcc
	global_load_dwordx4 v[122:125], v[14:15], off offset:1808
	global_load_dwordx4 v[162:165], v[14:15], off offset:1792
	ds_read2_b64 v[146:149], v233 offset0:153 offset1:170
	ds_read2_b64 v[118:121], v161 offset0:135 offset1:152
	global_load_dwordx4 v[174:177], v[14:15], off offset:1840
	global_load_dwordx4 v[126:129], v[14:15], off offset:1824
	v_fmac_f64_e32 v[72:73], s[6:7], v[114:115]
	v_fmac_f64_e32 v[90:91], s[6:7], v[114:115]
	s_waitcnt vmcnt(7)
	v_mul_f64 v[102:103], v[70:71], v[106:107]
	s_waitcnt vmcnt(6)
	v_mul_f64 v[114:115], v[48:49], v[168:169]
	s_waitcnt vmcnt(4)
	v_mul_f64 v[132:133], v[44:45], v[112:113]
	v_mul_f64 v[138:139], v[78:79], v[172:173]
	ds_read_b64 v[116:117], v137
	v_fmac_f64_e32 v[102:103], v[98:99], v[104:105]
	s_waitcnt lgkmcnt(2)
	v_fmac_f64_e32 v[114:115], v[148:149], v[166:167]
	s_waitcnt lgkmcnt(1)
	v_fmac_f64_e32 v[132:133], v[120:121], v[110:111]
	v_fmac_f64_e32 v[138:139], v[130:131], v[170:171]
	v_add_f64 v[14:15], v[102:103], -v[114:115]
	v_add_f64 v[100:101], v[132:133], -v[138:139]
	v_mul_f64 v[98:99], v[98:99], v[106:107]
	v_add_f64 v[100:101], v[14:15], v[100:101]
	v_mul_f64 v[14:15], v[148:149], v[168:169]
	v_fma_f64 v[70:71], v[70:71], v[104:105], -v[98:99]
	v_mul_f64 v[98:99], v[120:121], v[112:113]
	v_fma_f64 v[48:49], v[48:49], v[166:167], -v[14:15]
	v_mul_f64 v[14:15], v[130:131], v[172:173]
	v_add_f64 v[108:109], v[114:115], v[138:139]
	v_fma_f64 v[44:45], v[44:45], v[110:111], -v[98:99]
	v_fma_f64 v[78:79], v[78:79], v[170:171], -v[14:15]
	ds_read_b64 v[14:15], v136
	s_waitcnt lgkmcnt(1)
	v_fma_f64 v[108:109], -0.5, v[108:109], v[116:117]
	v_add_f64 v[98:99], v[70:71], -v[44:45]
	v_add_f64 v[130:131], v[48:49], -v[78:79]
	v_fma_f64 v[104:105], s[4:5], v[98:99], v[108:109]
	v_fmac_f64_e32 v[108:109], s[10:11], v[98:99]
	v_fmac_f64_e32 v[104:105], s[0:1], v[130:131]
	v_fmac_f64_e32 v[108:109], s[14:15], v[130:131]
	v_fmac_f64_e32 v[104:105], s[6:7], v[100:101]
	v_fmac_f64_e32 v[108:109], s[6:7], v[100:101]
	v_add_f64 v[100:101], v[114:115], -v[102:103]
	v_add_f64 v[106:107], v[138:139], -v[132:133]
	v_add_f64 v[106:107], v[100:101], v[106:107]
	v_add_f64 v[100:101], v[102:103], v[132:133]
	v_fma_f64 v[112:113], -0.5, v[100:101], v[116:117]
	v_fma_f64 v[100:101], s[10:11], v[130:131], v[112:113]
	v_fmac_f64_e32 v[112:113], s[4:5], v[130:131]
	v_fmac_f64_e32 v[100:101], s[0:1], v[98:99]
	;; [unrolled: 1-line block ×3, first 2 shown]
	v_add_f64 v[98:99], v[114:115], v[116:117]
	v_add_f64 v[98:99], v[102:103], v[98:99]
	v_add_f64 v[98:99], v[132:133], v[98:99]
	v_fmac_f64_e32 v[100:101], s[6:7], v[106:107]
	v_fmac_f64_e32 v[112:113], s[6:7], v[106:107]
	v_add_f64 v[116:117], v[138:139], v[98:99]
	v_add_f64 v[98:99], v[70:71], -v[48:49]
	v_add_f64 v[106:107], v[44:45], -v[78:79]
	;; [unrolled: 1-line block ×3, first 2 shown]
	v_add_f64 v[102:103], v[48:49], v[78:79]
	v_add_f64 v[98:99], v[98:99], v[106:107]
	v_fma_f64 v[106:107], -0.5, v[102:103], v[134:135]
	v_fma_f64 v[102:103], s[10:11], v[120:121], v[106:107]
	v_add_f64 v[114:115], v[114:115], -v[138:139]
	v_fmac_f64_e32 v[106:107], s[4:5], v[120:121]
	v_fmac_f64_e32 v[102:103], s[14:15], v[114:115]
	;; [unrolled: 1-line block ×5, first 2 shown]
	v_add_f64 v[98:99], v[48:49], -v[70:71]
	v_add_f64 v[110:111], v[78:79], -v[44:45]
	v_add_f64 v[130:131], v[98:99], v[110:111]
	v_add_f64 v[98:99], v[70:71], v[44:45]
	v_fma_f64 v[110:111], -0.5, v[98:99], v[134:135]
	v_add_f64 v[48:49], v[134:135], v[48:49]
	v_fma_f64 v[98:99], s[4:5], v[114:115], v[110:111]
	v_fmac_f64_e32 v[110:111], s[10:11], v[114:115]
	v_add_f64 v[48:49], v[70:71], v[48:49]
	ds_read2_b64 v[134:137], v161 offset0:237 offset1:254
	v_lshlrev_b32_e32 v156, 2, v182
	v_fmac_f64_e32 v[98:99], s[14:15], v[120:121]
	v_fmac_f64_e32 v[110:111], s[0:1], v[120:121]
	v_add_u32_e32 v114, 0x400, v233
	v_add_f64 v[44:45], v[48:49], v[44:45]
	v_lshlrev_b64 v[48:49], 4, v[156:157]
	v_fmac_f64_e32 v[98:99], s[6:7], v[130:131]
	v_fmac_f64_e32 v[110:111], s[6:7], v[130:131]
	ds_read2_b64 v[130:133], v114 offset0:127 offset1:144
	v_add_co_u32_e32 v48, vcc, s8, v48
	v_addc_co_u32_e32 v49, vcc, v160, v49, vcc
	s_waitcnt vmcnt(2)
	v_mul_f64 v[148:149], v[46:47], v[164:165]
	s_waitcnt vmcnt(1)
	v_mul_f64 v[180:181], v[24:25], v[176:177]
	global_load_dwordx4 v[138:141], v[48:49], off offset:1808
	global_load_dwordx4 v[166:169], v[48:49], off offset:1792
	;; [unrolled: 1-line block ×4, first 2 shown]
	v_fmac_f64_e32 v[148:149], v[146:147], v[162:163]
	s_waitcnt lgkmcnt(1)
	v_fmac_f64_e32 v[180:181], v[136:137], v[174:175]
	v_mul_f64 v[48:49], v[146:147], v[164:165]
	v_fma_f64 v[146:147], v[46:47], v[162:163], -v[48:49]
	v_add_f64 v[48:49], v[148:149], v[180:181]
	v_fma_f64 v[120:121], -0.5, v[48:49], v[14:15]
	s_waitcnt lgkmcnt(0)
	v_mul_f64 v[48:49], v[132:133], v[124:125]
	v_add_f64 v[114:115], v[44:45], v[78:79]
	v_mul_f64 v[78:79], v[20:21], v[124:125]
	s_waitcnt vmcnt(4)
	v_mul_f64 v[178:179], v[42:43], v[128:129]
	v_fma_f64 v[20:21], v[20:21], v[122:123], -v[48:49]
	v_mul_f64 v[48:49], v[118:119], v[128:129]
	v_fmac_f64_e32 v[178:179], v[118:119], v[126:127]
	v_mul_f64 v[46:47], v[136:137], v[176:177]
	v_fma_f64 v[126:127], v[42:43], v[126:127], -v[48:49]
	v_fmac_f64_e32 v[78:79], v[132:133], v[122:123]
	v_fma_f64 v[24:25], v[24:25], v[174:175], -v[46:47]
	v_add_f64 v[42:43], v[20:21], -v[126:127]
	v_add_f64 v[44:45], v[78:79], -v[148:149]
	;; [unrolled: 1-line block ×4, first 2 shown]
	v_fma_f64 v[48:49], s[4:5], v[42:43], v[120:121]
	v_fmac_f64_e32 v[120:121], s[10:11], v[42:43]
	v_add_f64 v[44:45], v[44:45], v[70:71]
	v_fmac_f64_e32 v[48:49], s[0:1], v[46:47]
	v_fmac_f64_e32 v[120:121], s[14:15], v[46:47]
	;; [unrolled: 1-line block ×4, first 2 shown]
	v_add_f64 v[44:45], v[148:149], -v[78:79]
	v_add_f64 v[118:119], v[180:181], -v[178:179]
	v_add_f64 v[118:119], v[44:45], v[118:119]
	v_add_f64 v[44:45], v[78:79], v[178:179]
	v_fma_f64 v[124:125], -0.5, v[44:45], v[14:15]
	v_add_f64 v[14:15], v[148:149], v[14:15]
	v_add_f64 v[14:15], v[78:79], v[14:15]
	v_fma_f64 v[44:45], s[10:11], v[46:47], v[124:125]
	v_fmac_f64_e32 v[124:125], s[4:5], v[46:47]
	v_add_f64 v[14:15], v[178:179], v[14:15]
	v_fmac_f64_e32 v[44:45], s[0:1], v[42:43]
	v_fmac_f64_e32 v[124:125], s[14:15], v[42:43]
	v_add_f64 v[128:129], v[180:181], v[14:15]
	v_add_f64 v[14:15], v[20:21], -v[146:147]
	v_add_f64 v[42:43], v[126:127], -v[24:25]
	v_add_f64 v[14:15], v[14:15], v[42:43]
	v_add_f64 v[42:43], v[146:147], v[24:25]
	v_fmac_f64_e32 v[44:45], s[6:7], v[118:119]
	v_fmac_f64_e32 v[124:125], s[6:7], v[118:119]
	v_add_f64 v[78:79], v[78:79], -v[178:179]
	v_fma_f64 v[118:119], -0.5, v[42:43], v[154:155]
	v_fma_f64 v[46:47], s[10:11], v[78:79], v[118:119]
	v_add_f64 v[132:133], v[148:149], -v[180:181]
	v_fmac_f64_e32 v[118:119], s[4:5], v[78:79]
	v_fmac_f64_e32 v[46:47], s[14:15], v[132:133]
	;; [unrolled: 1-line block ×5, first 2 shown]
	v_add_f64 v[14:15], v[146:147], -v[20:21]
	v_add_f64 v[42:43], v[24:25], -v[126:127]
	v_add_f64 v[14:15], v[14:15], v[42:43]
	v_add_f64 v[42:43], v[20:21], v[126:127]
	v_fma_f64 v[122:123], -0.5, v[42:43], v[154:155]
	v_fma_f64 v[42:43], s[4:5], v[132:133], v[122:123]
	v_fmac_f64_e32 v[122:123], s[10:11], v[132:133]
	v_fmac_f64_e32 v[42:43], s[14:15], v[78:79]
	;; [unrolled: 1-line block ×5, first 2 shown]
	v_add_f64 v[14:15], v[154:155], v[146:147]
	v_lshlrev_b32_e32 v156, 2, v248
	v_add_f64 v[14:15], v[20:21], v[14:15]
	v_lshlrev_b64 v[20:21], 4, v[156:157]
	v_add_co_u32_e32 v20, vcc, s8, v20
	v_accvgpr_read_b32 v70, a6
	v_addc_co_u32_e32 v21, vcc, v160, v21, vcc
	ds_read_b64 v[70:71], v70
	global_load_dwordx4 v[146:149], v[20:21], off offset:1808
	global_load_dwordx4 v[154:157], v[20:21], off offset:1792
	ds_read2_b64 v[162:165], v233 offset0:119 offset1:136
	global_load_dwordx4 v[174:177], v[20:21], off offset:1840
	global_load_dwordx4 v[178:181], v[20:21], off offset:1824
	ds_read2_b64 v[182:185], v161 offset0:101 offset1:118
	s_waitcnt vmcnt(7)
	v_mul_f64 v[78:79], v[18:19], v[140:141]
	s_waitcnt vmcnt(6)
	v_mul_f64 v[160:161], v[12:13], v[168:169]
	;; [unrolled: 2-line block ×3, first 2 shown]
	v_mul_f64 v[188:189], v[22:23], v[172:173]
	v_add_f64 v[14:15], v[14:15], v[126:127]
	v_fmac_f64_e32 v[78:79], v[130:131], v[138:139]
	s_waitcnt lgkmcnt(1)
	v_fmac_f64_e32 v[160:161], v[164:165], v[166:167]
	s_waitcnt lgkmcnt(0)
	v_fmac_f64_e32 v[186:187], v[184:185], v[142:143]
	v_fmac_f64_e32 v[188:189], v[134:135], v[170:171]
	v_add_f64 v[126:127], v[14:15], v[24:25]
	v_add_f64 v[14:15], v[78:79], -v[160:161]
	v_add_f64 v[20:21], v[186:187], -v[188:189]
	v_add_f64 v[14:15], v[14:15], v[20:21]
	v_mul_f64 v[20:21], v[164:165], v[168:169]
	v_fma_f64 v[164:165], v[12:13], v[166:167], -v[20:21]
	v_add_f64 v[20:21], v[160:161], v[188:189]
	v_fma_f64 v[24:25], -0.5, v[20:21], v[70:71]
	v_mul_f64 v[20:21], v[130:131], v[140:141]
	v_fma_f64 v[138:139], v[18:19], v[138:139], -v[20:21]
	v_mul_f64 v[18:19], v[184:185], v[144:145]
	v_mul_f64 v[12:13], v[134:135], v[172:173]
	v_fma_f64 v[8:9], v[8:9], v[142:143], -v[18:19]
	v_fma_f64 v[134:135], v[22:23], v[170:171], -v[12:13]
	v_add_f64 v[18:19], v[138:139], -v[8:9]
	v_add_f64 v[12:13], v[164:165], -v[134:135]
	v_fma_f64 v[20:21], s[4:5], v[18:19], v[24:25]
	v_fmac_f64_e32 v[24:25], s[10:11], v[18:19]
	v_accvgpr_read_b32 v22, a3
	v_fmac_f64_e32 v[20:21], s[0:1], v[12:13]
	v_fmac_f64_e32 v[24:25], s[14:15], v[12:13]
	ds_read_b64 v[166:167], v22
	v_fmac_f64_e32 v[20:21], s[6:7], v[14:15]
	v_fmac_f64_e32 v[24:25], s[6:7], v[14:15]
	v_add_f64 v[14:15], v[160:161], -v[78:79]
	v_add_f64 v[22:23], v[188:189], -v[186:187]
	v_add_f64 v[22:23], v[14:15], v[22:23]
	v_add_f64 v[14:15], v[78:79], v[186:187]
	v_fma_f64 v[132:133], -0.5, v[14:15], v[70:71]
	v_fma_f64 v[14:15], s[10:11], v[12:13], v[132:133]
	v_fmac_f64_e32 v[132:133], s[4:5], v[12:13]
	v_add_f64 v[12:13], v[160:161], v[70:71]
	v_add_f64 v[12:13], v[78:79], v[12:13]
	;; [unrolled: 1-line block ×3, first 2 shown]
	v_fmac_f64_e32 v[14:15], s[0:1], v[18:19]
	v_fmac_f64_e32 v[132:133], s[14:15], v[18:19]
	v_add_f64 v[136:137], v[188:189], v[12:13]
	v_add_f64 v[12:13], v[138:139], -v[164:165]
	v_add_f64 v[18:19], v[8:9], -v[134:135]
	v_add_f64 v[12:13], v[12:13], v[18:19]
	v_add_f64 v[18:19], v[164:165], v[134:135]
	v_fmac_f64_e32 v[14:15], s[6:7], v[22:23]
	v_fmac_f64_e32 v[132:133], s[6:7], v[22:23]
	v_add_f64 v[70:71], v[78:79], -v[186:187]
	v_fma_f64 v[22:23], -0.5, v[18:19], v[152:153]
	v_fma_f64 v[18:19], s[10:11], v[70:71], v[22:23]
	v_add_f64 v[78:79], v[160:161], -v[188:189]
	v_fmac_f64_e32 v[22:23], s[4:5], v[70:71]
	v_fmac_f64_e32 v[18:19], s[14:15], v[78:79]
	;; [unrolled: 1-line block ×5, first 2 shown]
	v_add_f64 v[12:13], v[164:165], -v[138:139]
	v_add_f64 v[130:131], v[134:135], -v[8:9]
	v_add_f64 v[140:141], v[12:13], v[130:131]
	v_add_f64 v[12:13], v[138:139], v[8:9]
	v_fma_f64 v[130:131], -0.5, v[12:13], v[152:153]
	v_fma_f64 v[12:13], s[4:5], v[78:79], v[130:131]
	v_fmac_f64_e32 v[130:131], s[10:11], v[78:79]
	v_fmac_f64_e32 v[12:13], s[14:15], v[70:71]
	;; [unrolled: 1-line block ×3, first 2 shown]
	v_add_f64 v[70:71], v[152:153], v[164:165]
	v_add_f64 v[70:71], v[138:139], v[70:71]
	;; [unrolled: 1-line block ×4, first 2 shown]
	v_fmac_f64_e32 v[12:13], s[6:7], v[140:141]
	s_waitcnt vmcnt(3)
	v_mul_f64 v[70:71], v[4:5], v[148:149]
	s_waitcnt vmcnt(2)
	v_mul_f64 v[138:139], v[10:11], v[156:157]
	;; [unrolled: 2-line block ×4, first 2 shown]
	v_fmac_f64_e32 v[70:71], v[76:77], v[146:147]
	v_fmac_f64_e32 v[138:139], v[162:163], v[154:155]
	;; [unrolled: 1-line block ×4, first 2 shown]
	v_add_f64 v[8:9], v[70:71], -v[138:139]
	v_add_f64 v[78:79], v[142:143], -v[152:153]
	v_fmac_f64_e32 v[130:131], s[6:7], v[140:141]
	v_add_f64 v[140:141], v[8:9], v[78:79]
	v_mul_f64 v[8:9], v[162:163], v[156:157]
	v_mul_f64 v[76:77], v[76:77], v[148:149]
	v_fma_f64 v[10:11], v[10:11], v[154:155], -v[8:9]
	v_mul_f64 v[8:9], v[84:85], v[176:177]
	v_fma_f64 v[4:5], v[4:5], v[146:147], -v[76:77]
	;; [unrolled: 2-line block ×3, first 2 shown]
	v_add_f64 v[8:9], v[138:139], v[152:153]
	v_fma_f64 v[146:147], v[6:7], v[178:179], -v[76:77]
	s_waitcnt lgkmcnt(0)
	v_fma_f64 v[8:9], -0.5, v[8:9], v[166:167]
	v_add_f64 v[6:7], v[4:5], -v[146:147]
	v_add_f64 v[84:85], v[10:11], -v[16:17]
	v_fma_f64 v[78:79], s[4:5], v[6:7], v[8:9]
	v_fmac_f64_e32 v[8:9], s[10:11], v[6:7]
	v_fmac_f64_e32 v[78:79], s[0:1], v[84:85]
	;; [unrolled: 1-line block ×5, first 2 shown]
	v_add_f64 v[76:77], v[138:139], -v[70:71]
	v_add_f64 v[140:141], v[152:153], -v[142:143]
	v_add_f64 v[76:77], v[76:77], v[140:141]
	v_add_f64 v[140:141], v[70:71], v[142:143]
	v_fma_f64 v[140:141], -0.5, v[140:141], v[166:167]
	v_fma_f64 v[144:145], s[10:11], v[84:85], v[140:141]
	v_fmac_f64_e32 v[140:141], s[4:5], v[84:85]
	v_fmac_f64_e32 v[144:145], s[0:1], v[6:7]
	;; [unrolled: 1-line block ×3, first 2 shown]
	v_add_f64 v[6:7], v[138:139], v[166:167]
	v_add_f64 v[6:7], v[70:71], v[6:7]
	;; [unrolled: 1-line block ×3, first 2 shown]
	v_fmac_f64_e32 v[144:145], s[6:7], v[76:77]
	v_fmac_f64_e32 v[140:141], s[6:7], v[76:77]
	v_add_f64 v[148:149], v[152:153], v[6:7]
	v_add_f64 v[6:7], v[4:5], -v[10:11]
	v_add_f64 v[76:77], v[146:147], -v[16:17]
	v_add_f64 v[84:85], v[6:7], v[76:77]
	v_add_f64 v[6:7], v[10:11], v[16:17]
	v_add_f64 v[70:71], v[70:71], -v[142:143]
	v_fma_f64 v[6:7], -0.5, v[6:7], v[150:151]
	v_fma_f64 v[76:77], s[10:11], v[70:71], v[6:7]
	v_add_f64 v[152:153], v[138:139], -v[152:153]
	v_fmac_f64_e32 v[6:7], s[4:5], v[70:71]
	v_fmac_f64_e32 v[76:77], s[14:15], v[152:153]
	;; [unrolled: 1-line block ×5, first 2 shown]
	v_add_f64 v[84:85], v[10:11], -v[4:5]
	v_add_f64 v[138:139], v[16:17], -v[146:147]
	v_add_f64 v[84:85], v[84:85], v[138:139]
	v_add_f64 v[138:139], v[4:5], v[146:147]
	v_fma_f64 v[138:139], -0.5, v[138:139], v[150:151]
	v_add_f64 v[10:11], v[150:151], v[10:11]
	v_fma_f64 v[142:143], s[4:5], v[152:153], v[138:139]
	v_fmac_f64_e32 v[138:139], s[10:11], v[152:153]
	v_add_f64 v[4:5], v[4:5], v[10:11]
	v_fmac_f64_e32 v[138:139], s[0:1], v[70:71]
	v_add_f64 v[4:5], v[4:5], v[146:147]
	v_mad_u64_u32 v[10:11], s[0:1], s2, v248, 0
	v_add_f64 v[146:147], v[4:5], v[16:17]
	v_mov_b32_e32 v4, v11
	v_accvgpr_read_b32 v17, a5
	v_mad_u64_u32 v[4:5], s[0:1], s3, v248, v[4:5]
	v_accvgpr_read_b32 v16, a4
	v_mov_b32_e32 v11, v4
	v_mov_b32_e32 v5, s13
	v_add_co_u32_e32 v4, vcc, s12, v16
	v_addc_co_u32_e32 v5, vcc, v5, v17, vcc
	v_lshlrev_b64 v[10:11], 4, v[10:11]
	v_add_co_u32_e32 v10, vcc, v4, v10
	v_addc_co_u32_e32 v11, vcc, v5, v11, vcc
	v_add_u32_e32 v17, 0x77, v248
	global_store_dwordx4 v[10:11], v[146:149], off
	v_mad_u64_u32 v[10:11], s[0:1], s2, v17, 0
	v_mov_b32_e32 v16, v11
	v_mad_u64_u32 v[16:17], s[0:1], s3, v17, v[16:17]
	v_mov_b32_e32 v11, v16
	v_lshlrev_b64 v[10:11], 4, v[10:11]
	v_add_co_u32_e32 v10, vcc, v4, v10
	v_fmac_f64_e32 v[138:139], s[6:7], v[84:85]
	v_addc_co_u32_e32 v11, vcc, v5, v11, vcc
	v_add_u32_e32 v17, 0xee, v248
	global_store_dwordx4 v[10:11], v[138:141], off
	v_mad_u64_u32 v[10:11], s[0:1], s2, v17, 0
	v_mov_b32_e32 v16, v11
	v_mad_u64_u32 v[16:17], s[0:1], s3, v17, v[16:17]
	v_mov_b32_e32 v11, v16
	v_lshlrev_b64 v[10:11], 4, v[10:11]
	v_add_co_u32_e32 v10, vcc, v4, v10
	v_addc_co_u32_e32 v11, vcc, v5, v11, vcc
	global_store_dwordx4 v[10:11], v[6:9], off
	v_fmac_f64_e32 v[142:143], s[14:15], v[70:71]
	v_add_u32_e32 v9, 0x165, v248
	v_mad_u64_u32 v[6:7], s[0:1], s2, v9, 0
	v_mov_b32_e32 v8, v7
	v_mad_u64_u32 v[8:9], s[0:1], s3, v9, v[8:9]
	v_mov_b32_e32 v7, v8
	v_lshlrev_b64 v[6:7], 4, v[6:7]
	v_add_co_u32_e32 v6, vcc, v4, v6
	v_addc_co_u32_e32 v7, vcc, v5, v7, vcc
	v_add_u32_e32 v9, 0x1dc, v248
	global_store_dwordx4 v[6:7], v[76:79], off
	v_mad_u64_u32 v[6:7], s[4:5], s2, v9, 0
	v_mov_b32_e32 v8, v7
	v_mad_u64_u32 v[8:9], s[4:5], s3, v9, v[8:9]
	v_mov_b32_e32 v7, v8
	v_lshlrev_b64 v[6:7], 4, v[6:7]
	v_add_co_u32_e32 v6, vcc, v4, v6
	v_fmac_f64_e32 v[142:143], s[6:7], v[84:85]
	v_addc_co_u32_e32 v7, vcc, v5, v7, vcc
	v_accvgpr_read_b32 v9, a2
	global_store_dwordx4 v[6:7], v[142:145], off
	v_mad_u64_u32 v[6:7], s[4:5], s2, v9, 0
	v_mov_b32_e32 v8, v7
	v_mad_u64_u32 v[8:9], s[4:5], s3, v9, v[8:9]
	v_mov_b32_e32 v7, v8
	v_lshlrev_b64 v[6:7], 4, v[6:7]
	v_add_co_u32_e32 v6, vcc, v4, v6
	v_addc_co_u32_e32 v7, vcc, v5, v7, vcc
	v_add_u32_e32 v9, 0x88, v248
	global_store_dwordx4 v[6:7], v[134:137], off
	v_mad_u64_u32 v[6:7], s[4:5], s2, v9, 0
	v_mov_b32_e32 v8, v7
	v_mad_u64_u32 v[8:9], s[4:5], s3, v9, v[8:9]
	v_mov_b32_e32 v7, v8
	v_lshlrev_b64 v[6:7], 4, v[6:7]
	v_add_co_u32_e32 v6, vcc, v4, v6
	v_addc_co_u32_e32 v7, vcc, v5, v7, vcc
	v_add_u32_e32 v9, 0xff, v248
	;; [unrolled: 9-line block ×4, first 2 shown]
	global_store_dwordx4 v[6:7], v[18:21], off
	v_mad_u64_u32 v[6:7], s[4:5], s2, v9, 0
	v_mov_b32_e32 v8, v7
	v_mad_u64_u32 v[8:9], s[4:5], s3, v9, v[8:9]
	v_mov_b32_e32 v7, v8
	v_lshlrev_b64 v[6:7], 4, v[6:7]
	v_add_co_u32_e32 v6, vcc, v4, v6
	v_addc_co_u32_e32 v7, vcc, v5, v7, vcc
	global_store_dwordx4 v[6:7], v[12:15], off
	s_mov_b32 s1, 0x44d72045
	v_accvgpr_read_b32 v7, a1
	v_mul_hi_u32 v6, v7, s1
	s_movk_i32 s0, 0x1dc
	v_lshrrev_b32_e32 v6, 5, v6
	v_mad_u32_u24 v10, v6, s0, v7
	v_mad_u64_u32 v[6:7], s[4:5], s2, v10, 0
	v_mov_b32_e32 v8, v7
	v_mad_u64_u32 v[8:9], s[4:5], s3, v10, v[8:9]
	v_mov_b32_e32 v7, v8
	v_lshlrev_b64 v[6:7], 4, v[6:7]
	v_add_co_u32_e32 v6, vcc, v4, v6
	v_addc_co_u32_e32 v7, vcc, v5, v7, vcc
	v_add_u32_e32 v9, 0x77, v10
	global_store_dwordx4 v[6:7], v[126:129], off
	v_mad_u64_u32 v[6:7], s[4:5], s2, v9, 0
	v_mov_b32_e32 v8, v7
	v_mad_u64_u32 v[8:9], s[4:5], s3, v9, v[8:9]
	v_mov_b32_e32 v7, v8
	v_lshlrev_b64 v[6:7], 4, v[6:7]
	v_add_co_u32_e32 v6, vcc, v4, v6
	v_addc_co_u32_e32 v7, vcc, v5, v7, vcc
	v_add_u32_e32 v9, 0xee, v10
	global_store_dwordx4 v[6:7], v[122:125], off
	;; [unrolled: 9-line block ×4, first 2 shown]
	v_mad_u64_u32 v[6:7], s[4:5], s2, v9, 0
	v_mov_b32_e32 v8, v7
	v_mad_u64_u32 v[8:9], s[4:5], s3, v9, v[8:9]
	v_mov_b32_e32 v7, v8
	v_lshlrev_b64 v[6:7], 4, v[6:7]
	v_add_co_u32_e32 v6, vcc, v4, v6
	v_addc_co_u32_e32 v7, vcc, v5, v7, vcc
	global_store_dwordx4 v[6:7], v[42:45], off
	v_accvgpr_read_b32 v7, a0
	v_mul_hi_u32 v6, v7, s1
	v_lshrrev_b32_e32 v6, 5, v6
	v_mad_u32_u24 v10, v6, s0, v7
	v_mad_u64_u32 v[6:7], s[4:5], s2, v10, 0
	v_mov_b32_e32 v8, v7
	v_mad_u64_u32 v[8:9], s[4:5], s3, v10, v[8:9]
	v_mov_b32_e32 v7, v8
	v_lshlrev_b64 v[6:7], 4, v[6:7]
	v_add_co_u32_e32 v6, vcc, v4, v6
	v_addc_co_u32_e32 v7, vcc, v5, v7, vcc
	v_add_u32_e32 v9, 0x77, v10
	global_store_dwordx4 v[6:7], v[114:117], off
	v_mad_u64_u32 v[6:7], s[4:5], s2, v9, 0
	v_mov_b32_e32 v8, v7
	v_mad_u64_u32 v[8:9], s[4:5], s3, v9, v[8:9]
	v_mov_b32_e32 v7, v8
	v_lshlrev_b64 v[6:7], 4, v[6:7]
	v_add_co_u32_e32 v6, vcc, v4, v6
	v_addc_co_u32_e32 v7, vcc, v5, v7, vcc
	v_add_u32_e32 v9, 0xee, v10
	global_store_dwordx4 v[6:7], v[110:113], off
	;; [unrolled: 9-line block ×4, first 2 shown]
	v_mad_u64_u32 v[6:7], s[4:5], s2, v9, 0
	v_mov_b32_e32 v8, v7
	v_mad_u64_u32 v[8:9], s[4:5], s3, v9, v[8:9]
	v_mov_b32_e32 v7, v8
	v_lshlrev_b64 v[6:7], 4, v[6:7]
	v_add_co_u32_e32 v6, vcc, v4, v6
	v_addc_co_u32_e32 v7, vcc, v5, v7, vcc
	global_store_dwordx4 v[6:7], v[98:101], off
	v_add_u32_e32 v6, 0x44, v248
	v_mul_hi_u32 v7, v6, s1
	v_lshrrev_b32_e32 v7, 5, v7
	v_mad_u32_u24 v10, v7, s0, v6
	v_mad_u64_u32 v[6:7], s[4:5], s2, v10, 0
	v_mov_b32_e32 v8, v7
	v_mad_u64_u32 v[8:9], s[4:5], s3, v10, v[8:9]
	v_mov_b32_e32 v7, v8
	v_lshlrev_b64 v[6:7], 4, v[6:7]
	v_add_co_u32_e32 v6, vcc, v4, v6
	v_addc_co_u32_e32 v7, vcc, v5, v7, vcc
	v_add_u32_e32 v9, 0x77, v10
	global_store_dwordx4 v[6:7], v[94:97], off
	v_mad_u64_u32 v[6:7], s[4:5], s2, v9, 0
	v_mov_b32_e32 v8, v7
	v_mad_u64_u32 v[8:9], s[4:5], s3, v9, v[8:9]
	v_mov_b32_e32 v7, v8
	v_lshlrev_b64 v[6:7], 4, v[6:7]
	v_add_co_u32_e32 v6, vcc, v4, v6
	v_addc_co_u32_e32 v7, vcc, v5, v7, vcc
	v_add_u32_e32 v9, 0xee, v10
	global_store_dwordx4 v[6:7], v[90:93], off
	v_mad_u64_u32 v[6:7], s[4:5], s2, v9, 0
	v_mov_b32_e32 v8, v7
	v_mad_u64_u32 v[8:9], s[4:5], s3, v9, v[8:9]
	v_mov_b32_e32 v7, v8
	v_lshlrev_b64 v[6:7], 4, v[6:7]
	v_add_co_u32_e32 v6, vcc, v4, v6
	v_addc_co_u32_e32 v7, vcc, v5, v7, vcc
	v_add_u32_e32 v9, 0x165, v10
	global_store_dwordx4 v[6:7], v[86:89], off
	v_mad_u64_u32 v[6:7], s[4:5], s2, v9, 0
	v_mov_b32_e32 v8, v7
	v_mad_u64_u32 v[8:9], s[4:5], s3, v9, v[8:9]
	v_mov_b32_e32 v7, v8
	v_lshlrev_b64 v[6:7], 4, v[6:7]
	v_add_co_u32_e32 v6, vcc, v4, v6
	v_addc_co_u32_e32 v7, vcc, v5, v7, vcc
	v_add_u32_e32 v9, 0x1dc, v10
	global_store_dwordx4 v[6:7], v[80:83], off
	v_mad_u64_u32 v[6:7], s[4:5], s2, v9, 0
	v_mov_b32_e32 v8, v7
	v_mad_u64_u32 v[8:9], s[4:5], s3, v9, v[8:9]
	v_mov_b32_e32 v7, v8
	v_lshlrev_b64 v[6:7], 4, v[6:7]
	v_add_co_u32_e32 v6, vcc, v4, v6
	v_addc_co_u32_e32 v7, vcc, v5, v7, vcc
	global_store_dwordx4 v[6:7], v[72:75], off
	v_mul_hi_u32 v6, v159, s1
	v_lshrrev_b32_e32 v6, 5, v6
	v_mad_u32_u24 v10, v6, s0, v159
	v_mad_u64_u32 v[6:7], s[4:5], s2, v10, 0
	v_mov_b32_e32 v8, v7
	v_mad_u64_u32 v[8:9], s[4:5], s3, v10, v[8:9]
	v_mov_b32_e32 v7, v8
	v_lshlrev_b64 v[6:7], 4, v[6:7]
	v_add_co_u32_e32 v6, vcc, v4, v6
	v_addc_co_u32_e32 v7, vcc, v5, v7, vcc
	v_add_u32_e32 v9, 0x77, v10
	global_store_dwordx4 v[6:7], v[66:69], off
	v_mad_u64_u32 v[6:7], s[4:5], s2, v9, 0
	v_mov_b32_e32 v8, v7
	v_mad_u64_u32 v[8:9], s[4:5], s3, v9, v[8:9]
	v_mov_b32_e32 v7, v8
	v_lshlrev_b64 v[6:7], 4, v[6:7]
	v_add_co_u32_e32 v6, vcc, v4, v6
	v_addc_co_u32_e32 v7, vcc, v5, v7, vcc
	v_add_u32_e32 v9, 0xee, v10
	global_store_dwordx4 v[6:7], v[62:65], off
	v_mad_u64_u32 v[6:7], s[4:5], s2, v9, 0
	v_mov_b32_e32 v8, v7
	v_mad_u64_u32 v[8:9], s[4:5], s3, v9, v[8:9]
	v_mov_b32_e32 v7, v8
	v_lshlrev_b64 v[6:7], 4, v[6:7]
	v_add_co_u32_e32 v6, vcc, v4, v6
	v_addc_co_u32_e32 v7, vcc, v5, v7, vcc
	v_add_u32_e32 v9, 0x165, v10
	global_store_dwordx4 v[6:7], v[58:61], off
	v_mad_u64_u32 v[6:7], s[4:5], s2, v9, 0
	v_mov_b32_e32 v8, v7
	v_mad_u64_u32 v[8:9], s[4:5], s3, v9, v[8:9]
	v_mov_b32_e32 v7, v8
	v_lshlrev_b64 v[6:7], 4, v[6:7]
	v_add_co_u32_e32 v6, vcc, v4, v6
	v_addc_co_u32_e32 v7, vcc, v5, v7, vcc
	v_add_u32_e32 v9, 0x1dc, v10
	global_store_dwordx4 v[6:7], v[54:57], off
	v_mad_u64_u32 v[6:7], s[4:5], s2, v9, 0
	v_mov_b32_e32 v8, v7
	v_mad_u64_u32 v[8:9], s[4:5], s3, v9, v[8:9]
	v_mov_b32_e32 v7, v8
	v_lshlrev_b64 v[6:7], 4, v[6:7]
	v_add_co_u32_e32 v6, vcc, v4, v6
	v_addc_co_u32_e32 v7, vcc, v5, v7, vcc
	global_store_dwordx4 v[6:7], v[50:53], off
	;; [unrolled: 47-line block ×3, first 2 shown]
.LBB0_22:
	s_endpgm
	.section	.rodata,"a",@progbits
	.p2align	6, 0x0
	.amdhsa_kernel fft_rtc_fwd_len595_factors_7_17_5_wgs_51_tpt_17_halfLds_dp_ip_CI_sbrr_dirReg
		.amdhsa_group_segment_fixed_size 0
		.amdhsa_private_segment_fixed_size 0
		.amdhsa_kernarg_size 88
		.amdhsa_user_sgpr_count 6
		.amdhsa_user_sgpr_private_segment_buffer 1
		.amdhsa_user_sgpr_dispatch_ptr 0
		.amdhsa_user_sgpr_queue_ptr 0
		.amdhsa_user_sgpr_kernarg_segment_ptr 1
		.amdhsa_user_sgpr_dispatch_id 0
		.amdhsa_user_sgpr_flat_scratch_init 0
		.amdhsa_user_sgpr_kernarg_preload_length 0
		.amdhsa_user_sgpr_kernarg_preload_offset 0
		.amdhsa_user_sgpr_private_segment_size 0
		.amdhsa_uses_dynamic_stack 0
		.amdhsa_system_sgpr_private_segment_wavefront_offset 0
		.amdhsa_system_sgpr_workgroup_id_x 1
		.amdhsa_system_sgpr_workgroup_id_y 0
		.amdhsa_system_sgpr_workgroup_id_z 0
		.amdhsa_system_sgpr_workgroup_info 0
		.amdhsa_system_vgpr_workitem_id 0
		.amdhsa_next_free_vgpr 334
		.amdhsa_next_free_sgpr 60
		.amdhsa_accum_offset 256
		.amdhsa_reserve_vcc 1
		.amdhsa_reserve_flat_scratch 0
		.amdhsa_float_round_mode_32 0
		.amdhsa_float_round_mode_16_64 0
		.amdhsa_float_denorm_mode_32 3
		.amdhsa_float_denorm_mode_16_64 3
		.amdhsa_dx10_clamp 1
		.amdhsa_ieee_mode 1
		.amdhsa_fp16_overflow 0
		.amdhsa_tg_split 0
		.amdhsa_exception_fp_ieee_invalid_op 0
		.amdhsa_exception_fp_denorm_src 0
		.amdhsa_exception_fp_ieee_div_zero 0
		.amdhsa_exception_fp_ieee_overflow 0
		.amdhsa_exception_fp_ieee_underflow 0
		.amdhsa_exception_fp_ieee_inexact 0
		.amdhsa_exception_int_div_zero 0
	.end_amdhsa_kernel
	.text
.Lfunc_end0:
	.size	fft_rtc_fwd_len595_factors_7_17_5_wgs_51_tpt_17_halfLds_dp_ip_CI_sbrr_dirReg, .Lfunc_end0-fft_rtc_fwd_len595_factors_7_17_5_wgs_51_tpt_17_halfLds_dp_ip_CI_sbrr_dirReg
                                        ; -- End function
	.section	.AMDGPU.csdata,"",@progbits
; Kernel info:
; codeLenInByte = 35368
; NumSgprs: 64
; NumVgprs: 256
; NumAgprs: 78
; TotalNumVgprs: 334
; ScratchSize: 0
; MemoryBound: 1
; FloatMode: 240
; IeeeMode: 1
; LDSByteSize: 0 bytes/workgroup (compile time only)
; SGPRBlocks: 7
; VGPRBlocks: 41
; NumSGPRsForWavesPerEU: 64
; NumVGPRsForWavesPerEU: 334
; AccumOffset: 256
; Occupancy: 1
; WaveLimiterHint : 1
; COMPUTE_PGM_RSRC2:SCRATCH_EN: 0
; COMPUTE_PGM_RSRC2:USER_SGPR: 6
; COMPUTE_PGM_RSRC2:TRAP_HANDLER: 0
; COMPUTE_PGM_RSRC2:TGID_X_EN: 1
; COMPUTE_PGM_RSRC2:TGID_Y_EN: 0
; COMPUTE_PGM_RSRC2:TGID_Z_EN: 0
; COMPUTE_PGM_RSRC2:TIDIG_COMP_CNT: 0
; COMPUTE_PGM_RSRC3_GFX90A:ACCUM_OFFSET: 63
; COMPUTE_PGM_RSRC3_GFX90A:TG_SPLIT: 0
	.text
	.p2alignl 6, 3212836864
	.fill 256, 4, 3212836864
	.type	__hip_cuid_309d324c82a880e0,@object ; @__hip_cuid_309d324c82a880e0
	.section	.bss,"aw",@nobits
	.globl	__hip_cuid_309d324c82a880e0
__hip_cuid_309d324c82a880e0:
	.byte	0                               ; 0x0
	.size	__hip_cuid_309d324c82a880e0, 1

	.ident	"AMD clang version 19.0.0git (https://github.com/RadeonOpenCompute/llvm-project roc-6.4.0 25133 c7fe45cf4b819c5991fe208aaa96edf142730f1d)"
	.section	".note.GNU-stack","",@progbits
	.addrsig
	.addrsig_sym __hip_cuid_309d324c82a880e0
	.amdgpu_metadata
---
amdhsa.kernels:
  - .agpr_count:     78
    .args:
      - .actual_access:  read_only
        .address_space:  global
        .offset:         0
        .size:           8
        .value_kind:     global_buffer
      - .offset:         8
        .size:           8
        .value_kind:     by_value
      - .actual_access:  read_only
        .address_space:  global
        .offset:         16
        .size:           8
        .value_kind:     global_buffer
      - .actual_access:  read_only
        .address_space:  global
        .offset:         24
        .size:           8
        .value_kind:     global_buffer
      - .offset:         32
        .size:           8
        .value_kind:     by_value
      - .actual_access:  read_only
        .address_space:  global
        .offset:         40
        .size:           8
        .value_kind:     global_buffer
      - .actual_access:  read_only
        .address_space:  global
        .offset:         48
        .size:           8
        .value_kind:     global_buffer
      - .offset:         56
        .size:           4
        .value_kind:     by_value
      - .actual_access:  read_only
        .address_space:  global
        .offset:         64
        .size:           8
        .value_kind:     global_buffer
      - .actual_access:  read_only
        .address_space:  global
        .offset:         72
        .size:           8
        .value_kind:     global_buffer
      - .address_space:  global
        .offset:         80
        .size:           8
        .value_kind:     global_buffer
    .group_segment_fixed_size: 0
    .kernarg_segment_align: 8
    .kernarg_segment_size: 88
    .language:       OpenCL C
    .language_version:
      - 2
      - 0
    .max_flat_workgroup_size: 51
    .name:           fft_rtc_fwd_len595_factors_7_17_5_wgs_51_tpt_17_halfLds_dp_ip_CI_sbrr_dirReg
    .private_segment_fixed_size: 0
    .sgpr_count:     64
    .sgpr_spill_count: 0
    .symbol:         fft_rtc_fwd_len595_factors_7_17_5_wgs_51_tpt_17_halfLds_dp_ip_CI_sbrr_dirReg.kd
    .uniform_work_group_size: 1
    .uses_dynamic_stack: false
    .vgpr_count:     334
    .vgpr_spill_count: 0
    .wavefront_size: 64
amdhsa.target:   amdgcn-amd-amdhsa--gfx90a
amdhsa.version:
  - 1
  - 2
...

	.end_amdgpu_metadata
